;; amdgpu-corpus repo=ROCm/rocSPARSE kind=compiled arch=gfx906 opt=O3
	.amdgcn_target "amdgcn-amd-amdhsa--gfx906"
	.amdhsa_code_object_version 6
	.section	.text._ZN9rocsparseL23check_matrix_coo_deviceILj256EfiiEEvT2_S1_lPKT0_PKT1_PKS1_21rocsparse_index_base_22rocsparse_matrix_type_20rocsparse_fill_mode_23rocsparse_storage_mode_P22rocsparse_data_status_,"axG",@progbits,_ZN9rocsparseL23check_matrix_coo_deviceILj256EfiiEEvT2_S1_lPKT0_PKT1_PKS1_21rocsparse_index_base_22rocsparse_matrix_type_20rocsparse_fill_mode_23rocsparse_storage_mode_P22rocsparse_data_status_,comdat
	.globl	_ZN9rocsparseL23check_matrix_coo_deviceILj256EfiiEEvT2_S1_lPKT0_PKT1_PKS1_21rocsparse_index_base_22rocsparse_matrix_type_20rocsparse_fill_mode_23rocsparse_storage_mode_P22rocsparse_data_status_ ; -- Begin function _ZN9rocsparseL23check_matrix_coo_deviceILj256EfiiEEvT2_S1_lPKT0_PKT1_PKS1_21rocsparse_index_base_22rocsparse_matrix_type_20rocsparse_fill_mode_23rocsparse_storage_mode_P22rocsparse_data_status_
	.p2align	8
	.type	_ZN9rocsparseL23check_matrix_coo_deviceILj256EfiiEEvT2_S1_lPKT0_PKT1_PKS1_21rocsparse_index_base_22rocsparse_matrix_type_20rocsparse_fill_mode_23rocsparse_storage_mode_P22rocsparse_data_status_,@function
_ZN9rocsparseL23check_matrix_coo_deviceILj256EfiiEEvT2_S1_lPKT0_PKT1_PKS1_21rocsparse_index_base_22rocsparse_matrix_type_20rocsparse_fill_mode_23rocsparse_storage_mode_P22rocsparse_data_status_: ; @_ZN9rocsparseL23check_matrix_coo_deviceILj256EfiiEEvT2_S1_lPKT0_PKT1_PKS1_21rocsparse_index_base_22rocsparse_matrix_type_20rocsparse_fill_mode_23rocsparse_storage_mode_P22rocsparse_data_status_
; %bb.0:
	s_load_dwordx2 s[22:23], s[4:5], 0x8
	v_lshl_or_b32 v0, s6, 8, v0
	v_mov_b32_e32 v1, 0
	s_waitcnt lgkmcnt(0)
	v_cmp_gt_i64_e32 vcc, s[22:23], v[0:1]
	s_and_saveexec_b64 s[0:1], vcc
	s_cbranch_execz .LBB0_24
; %bb.1:
	s_load_dwordx2 s[0:1], s[4:5], 0x18
	s_load_dwordx2 s[6:7], s[4:5], 0x0
	v_lshlrev_b64 v[6:7], 2, v[0:1]
	s_load_dwordx4 s[8:11], s[4:5], 0x28
	v_mov_b32_e32 v10, 4
	s_waitcnt lgkmcnt(0)
	v_mov_b32_e32 v3, s1
	v_add_co_u32_e32 v2, vcc, s0, v6
	v_addc_co_u32_e32 v3, vcc, v3, v7, vcc
	global_load_dword v8, v[2:3], off
	s_waitcnt vmcnt(0)
	v_subrev_u32_e32 v4, s8, v8
	v_cmp_lt_i32_e32 vcc, -1, v4
	v_cmp_gt_i32_e64 s[0:1], s6, v4
	s_and_b64 s[0:1], vcc, s[0:1]
	s_xor_b64 s[12:13], s[0:1], -1
	s_and_saveexec_b64 s[14:15], s[0:1]
	s_cbranch_execz .LBB0_22
; %bb.2:
	s_load_dwordx2 s[0:1], s[4:5], 0x20
	s_waitcnt lgkmcnt(0)
	v_mov_b32_e32 v5, s1
	v_add_co_u32_e32 v4, vcc, s0, v6
	v_addc_co_u32_e32 v5, vcc, v5, v7, vcc
	global_load_dword v9, v[4:5], off
	s_waitcnt vmcnt(0)
	v_subrev_u32_e32 v10, s8, v9
	v_cmp_lt_i32_e32 vcc, -1, v10
	v_cmp_gt_i32_e64 s[0:1], s7, v10
	s_and_b64 s[0:1], vcc, s[0:1]
	s_xor_b64 s[16:17], s[0:1], -1
	v_mov_b32_e32 v10, 4
	s_and_saveexec_b64 s[18:19], s[0:1]
	s_cbranch_execz .LBB0_21
; %bb.3:
	s_load_dwordx2 s[0:1], s[4:5], 0x10
	s_mov_b32 s2, 0x7f800000
	s_waitcnt lgkmcnt(0)
	v_mov_b32_e32 v10, s1
	v_add_co_u32_e32 v6, vcc, s0, v6
	v_addc_co_u32_e32 v7, vcc, v10, v7, vcc
	global_load_dword v6, v[6:7], off
	v_mov_b32_e32 v10, 1
	s_waitcnt vmcnt(0)
	v_cmp_eq_f32_e64 s[0:1], s2, v6
	v_cmp_neq_f32_e32 vcc, s2, v6
	s_and_saveexec_b64 s[20:21], vcc
	s_cbranch_execz .LBB0_20
; %bb.4:
	v_cmp_o_f32_e32 vcc, v6, v6
	s_mov_b64 s[2:3], -1
	v_mov_b32_e32 v10, 2
	s_and_saveexec_b64 s[24:25], vcc
	s_cbranch_execz .LBB0_19
; %bb.5:
	s_cmp_lg_u32 s9, 0
	s_cbranch_scc0 .LBB0_8
; %bb.6:
	s_cmp_lg_u32 s10, 0
	s_cbranch_scc0 .LBB0_9
; %bb.7:
	v_cmp_le_i32_e32 vcc, v8, v9
	s_mov_b64 s[2:3], 0
	s_mov_b64 s[26:27], -1
	s_mov_b32 s6, 7
	s_and_b64 s[30:31], vcc, exec
	s_branch .LBB0_10
.LBB0_8:
	s_mov_b64 s[30:31], -1
	s_mov_b64 s[26:27], 0
	s_mov_b32 s6, 2
	s_branch .LBB0_12
.LBB0_9:
	s_mov_b64 s[30:31], 0
	s_mov_b32 s6, 2
	s_mov_b64 s[26:27], 0
.LBB0_10:
	s_andn2_b64 vcc, exec, s[2:3]
	s_cbranch_vccnz .LBB0_12
; %bb.11:
	v_cmp_lt_i32_e32 vcc, v8, v9
	v_cmp_ge_i32_e64 s[2:3], v8, v9
	s_andn2_b64 s[26:27], s[26:27], exec
	s_and_b64 s[28:29], vcc, exec
	s_or_b64 s[26:27], s[26:27], s[28:29]
	s_andn2_b64 s[28:29], s[30:31], exec
	s_and_b64 s[2:3], s[2:3], exec
	s_mov_b32 s6, 7
	s_or_b64 s[30:31], s[28:29], s[2:3]
.LBB0_12:
	v_mov_b32_e32 v10, s6
	s_and_saveexec_b64 s[28:29], s[30:31]
	s_cbranch_execz .LBB0_18
; %bb.13:
	s_cmp_eq_u32 s11, 0
	s_cselect_b64 s[2:3], -1, 0
	s_add_u32 s10, s22, -1
	s_addc_u32 s11, s23, -1
	v_cmp_gt_u64_e32 vcc, s[10:11], v[0:1]
	v_mov_b32_e32 v10, s6
	s_and_b64 s[22:23], s[2:3], vcc
	s_mov_b64 s[2:3], 0
	s_and_saveexec_b64 s[10:11], s[22:23]
	s_cbranch_execz .LBB0_17
; %bb.14:
	global_load_dword v0, v[2:3], off offset:4
	v_mov_b32_e32 v10, s6
	s_waitcnt vmcnt(0)
	v_cmp_eq_u32_e32 vcc, v8, v0
	s_and_saveexec_b64 s[22:23], vcc
	s_cbranch_execz .LBB0_16
; %bb.15:
	global_load_dword v0, v[4:5], off offset:4
	v_mov_b32_e32 v10, 6
	s_waitcnt vmcnt(0)
	v_subrev_u32_e32 v1, s8, v0
	v_cmp_lt_i32_e64 s[2:3], -1, v1
	v_cmp_gt_i32_e64 s[6:7], s7, v1
	v_cmp_gt_i32_e32 vcc, v9, v0
	s_and_b64 s[2:3], s[2:3], s[6:7]
	s_and_b64 s[2:3], vcc, s[2:3]
	s_and_b64 s[2:3], s[2:3], exec
.LBB0_16:
	s_or_b64 exec, exec, s[22:23]
	s_and_b64 s[2:3], s[2:3], exec
.LBB0_17:
	s_or_b64 exec, exec, s[10:11]
	s_andn2_b64 s[6:7], s[26:27], exec
	s_and_b64 s[2:3], s[2:3], exec
	s_or_b64 s[26:27], s[6:7], s[2:3]
.LBB0_18:
	s_or_b64 exec, exec, s[28:29]
	s_orn2_b64 s[2:3], s[26:27], exec
.LBB0_19:
	s_or_b64 exec, exec, s[24:25]
	s_andn2_b64 s[0:1], s[0:1], exec
	s_and_b64 s[2:3], s[2:3], exec
	s_or_b64 s[0:1], s[0:1], s[2:3]
.LBB0_20:
	s_or_b64 exec, exec, s[20:21]
	s_andn2_b64 s[2:3], s[16:17], exec
	s_and_b64 s[0:1], s[0:1], exec
	s_or_b64 s[16:17], s[2:3], s[0:1]
.LBB0_21:
	s_or_b64 exec, exec, s[18:19]
	s_andn2_b64 s[0:1], s[12:13], exec
	s_and_b64 s[2:3], s[16:17], exec
	s_or_b64 s[12:13], s[0:1], s[2:3]
.LBB0_22:
	s_or_b64 exec, exec, s[14:15]
	s_and_b64 exec, exec, s[12:13]
	s_cbranch_execz .LBB0_24
; %bb.23:
	s_load_dwordx2 s[0:1], s[4:5], 0x38
	v_mov_b32_e32 v0, 0
	s_waitcnt lgkmcnt(0)
	global_store_dword v0, v10, s[0:1]
.LBB0_24:
	s_endpgm
	.section	.rodata,"a",@progbits
	.p2align	6, 0x0
	.amdhsa_kernel _ZN9rocsparseL23check_matrix_coo_deviceILj256EfiiEEvT2_S1_lPKT0_PKT1_PKS1_21rocsparse_index_base_22rocsparse_matrix_type_20rocsparse_fill_mode_23rocsparse_storage_mode_P22rocsparse_data_status_
		.amdhsa_group_segment_fixed_size 0
		.amdhsa_private_segment_fixed_size 0
		.amdhsa_kernarg_size 64
		.amdhsa_user_sgpr_count 6
		.amdhsa_user_sgpr_private_segment_buffer 1
		.amdhsa_user_sgpr_dispatch_ptr 0
		.amdhsa_user_sgpr_queue_ptr 0
		.amdhsa_user_sgpr_kernarg_segment_ptr 1
		.amdhsa_user_sgpr_dispatch_id 0
		.amdhsa_user_sgpr_flat_scratch_init 0
		.amdhsa_user_sgpr_private_segment_size 0
		.amdhsa_uses_dynamic_stack 0
		.amdhsa_system_sgpr_private_segment_wavefront_offset 0
		.amdhsa_system_sgpr_workgroup_id_x 1
		.amdhsa_system_sgpr_workgroup_id_y 0
		.amdhsa_system_sgpr_workgroup_id_z 0
		.amdhsa_system_sgpr_workgroup_info 0
		.amdhsa_system_vgpr_workitem_id 0
		.amdhsa_next_free_vgpr 11
		.amdhsa_next_free_sgpr 32
		.amdhsa_reserve_vcc 1
		.amdhsa_reserve_flat_scratch 0
		.amdhsa_float_round_mode_32 0
		.amdhsa_float_round_mode_16_64 0
		.amdhsa_float_denorm_mode_32 3
		.amdhsa_float_denorm_mode_16_64 3
		.amdhsa_dx10_clamp 1
		.amdhsa_ieee_mode 1
		.amdhsa_fp16_overflow 0
		.amdhsa_exception_fp_ieee_invalid_op 0
		.amdhsa_exception_fp_denorm_src 0
		.amdhsa_exception_fp_ieee_div_zero 0
		.amdhsa_exception_fp_ieee_overflow 0
		.amdhsa_exception_fp_ieee_underflow 0
		.amdhsa_exception_fp_ieee_inexact 0
		.amdhsa_exception_int_div_zero 0
	.end_amdhsa_kernel
	.section	.text._ZN9rocsparseL23check_matrix_coo_deviceILj256EfiiEEvT2_S1_lPKT0_PKT1_PKS1_21rocsparse_index_base_22rocsparse_matrix_type_20rocsparse_fill_mode_23rocsparse_storage_mode_P22rocsparse_data_status_,"axG",@progbits,_ZN9rocsparseL23check_matrix_coo_deviceILj256EfiiEEvT2_S1_lPKT0_PKT1_PKS1_21rocsparse_index_base_22rocsparse_matrix_type_20rocsparse_fill_mode_23rocsparse_storage_mode_P22rocsparse_data_status_,comdat
.Lfunc_end0:
	.size	_ZN9rocsparseL23check_matrix_coo_deviceILj256EfiiEEvT2_S1_lPKT0_PKT1_PKS1_21rocsparse_index_base_22rocsparse_matrix_type_20rocsparse_fill_mode_23rocsparse_storage_mode_P22rocsparse_data_status_, .Lfunc_end0-_ZN9rocsparseL23check_matrix_coo_deviceILj256EfiiEEvT2_S1_lPKT0_PKT1_PKS1_21rocsparse_index_base_22rocsparse_matrix_type_20rocsparse_fill_mode_23rocsparse_storage_mode_P22rocsparse_data_status_
                                        ; -- End function
	.set _ZN9rocsparseL23check_matrix_coo_deviceILj256EfiiEEvT2_S1_lPKT0_PKT1_PKS1_21rocsparse_index_base_22rocsparse_matrix_type_20rocsparse_fill_mode_23rocsparse_storage_mode_P22rocsparse_data_status_.num_vgpr, 11
	.set _ZN9rocsparseL23check_matrix_coo_deviceILj256EfiiEEvT2_S1_lPKT0_PKT1_PKS1_21rocsparse_index_base_22rocsparse_matrix_type_20rocsparse_fill_mode_23rocsparse_storage_mode_P22rocsparse_data_status_.num_agpr, 0
	.set _ZN9rocsparseL23check_matrix_coo_deviceILj256EfiiEEvT2_S1_lPKT0_PKT1_PKS1_21rocsparse_index_base_22rocsparse_matrix_type_20rocsparse_fill_mode_23rocsparse_storage_mode_P22rocsparse_data_status_.numbered_sgpr, 32
	.set _ZN9rocsparseL23check_matrix_coo_deviceILj256EfiiEEvT2_S1_lPKT0_PKT1_PKS1_21rocsparse_index_base_22rocsparse_matrix_type_20rocsparse_fill_mode_23rocsparse_storage_mode_P22rocsparse_data_status_.num_named_barrier, 0
	.set _ZN9rocsparseL23check_matrix_coo_deviceILj256EfiiEEvT2_S1_lPKT0_PKT1_PKS1_21rocsparse_index_base_22rocsparse_matrix_type_20rocsparse_fill_mode_23rocsparse_storage_mode_P22rocsparse_data_status_.private_seg_size, 0
	.set _ZN9rocsparseL23check_matrix_coo_deviceILj256EfiiEEvT2_S1_lPKT0_PKT1_PKS1_21rocsparse_index_base_22rocsparse_matrix_type_20rocsparse_fill_mode_23rocsparse_storage_mode_P22rocsparse_data_status_.uses_vcc, 1
	.set _ZN9rocsparseL23check_matrix_coo_deviceILj256EfiiEEvT2_S1_lPKT0_PKT1_PKS1_21rocsparse_index_base_22rocsparse_matrix_type_20rocsparse_fill_mode_23rocsparse_storage_mode_P22rocsparse_data_status_.uses_flat_scratch, 0
	.set _ZN9rocsparseL23check_matrix_coo_deviceILj256EfiiEEvT2_S1_lPKT0_PKT1_PKS1_21rocsparse_index_base_22rocsparse_matrix_type_20rocsparse_fill_mode_23rocsparse_storage_mode_P22rocsparse_data_status_.has_dyn_sized_stack, 0
	.set _ZN9rocsparseL23check_matrix_coo_deviceILj256EfiiEEvT2_S1_lPKT0_PKT1_PKS1_21rocsparse_index_base_22rocsparse_matrix_type_20rocsparse_fill_mode_23rocsparse_storage_mode_P22rocsparse_data_status_.has_recursion, 0
	.set _ZN9rocsparseL23check_matrix_coo_deviceILj256EfiiEEvT2_S1_lPKT0_PKT1_PKS1_21rocsparse_index_base_22rocsparse_matrix_type_20rocsparse_fill_mode_23rocsparse_storage_mode_P22rocsparse_data_status_.has_indirect_call, 0
	.section	.AMDGPU.csdata,"",@progbits
; Kernel info:
; codeLenInByte = 660
; TotalNumSgprs: 36
; NumVgprs: 11
; ScratchSize: 0
; MemoryBound: 0
; FloatMode: 240
; IeeeMode: 1
; LDSByteSize: 0 bytes/workgroup (compile time only)
; SGPRBlocks: 4
; VGPRBlocks: 2
; NumSGPRsForWavesPerEU: 36
; NumVGPRsForWavesPerEU: 11
; Occupancy: 10
; WaveLimiterHint : 0
; COMPUTE_PGM_RSRC2:SCRATCH_EN: 0
; COMPUTE_PGM_RSRC2:USER_SGPR: 6
; COMPUTE_PGM_RSRC2:TRAP_HANDLER: 0
; COMPUTE_PGM_RSRC2:TGID_X_EN: 1
; COMPUTE_PGM_RSRC2:TGID_Y_EN: 0
; COMPUTE_PGM_RSRC2:TGID_Z_EN: 0
; COMPUTE_PGM_RSRC2:TIDIG_COMP_CNT: 0
	.section	.text._ZN9rocsparseL23check_matrix_coo_deviceILj256EdiiEEvT2_S1_lPKT0_PKT1_PKS1_21rocsparse_index_base_22rocsparse_matrix_type_20rocsparse_fill_mode_23rocsparse_storage_mode_P22rocsparse_data_status_,"axG",@progbits,_ZN9rocsparseL23check_matrix_coo_deviceILj256EdiiEEvT2_S1_lPKT0_PKT1_PKS1_21rocsparse_index_base_22rocsparse_matrix_type_20rocsparse_fill_mode_23rocsparse_storage_mode_P22rocsparse_data_status_,comdat
	.globl	_ZN9rocsparseL23check_matrix_coo_deviceILj256EdiiEEvT2_S1_lPKT0_PKT1_PKS1_21rocsparse_index_base_22rocsparse_matrix_type_20rocsparse_fill_mode_23rocsparse_storage_mode_P22rocsparse_data_status_ ; -- Begin function _ZN9rocsparseL23check_matrix_coo_deviceILj256EdiiEEvT2_S1_lPKT0_PKT1_PKS1_21rocsparse_index_base_22rocsparse_matrix_type_20rocsparse_fill_mode_23rocsparse_storage_mode_P22rocsparse_data_status_
	.p2align	8
	.type	_ZN9rocsparseL23check_matrix_coo_deviceILj256EdiiEEvT2_S1_lPKT0_PKT1_PKS1_21rocsparse_index_base_22rocsparse_matrix_type_20rocsparse_fill_mode_23rocsparse_storage_mode_P22rocsparse_data_status_,@function
_ZN9rocsparseL23check_matrix_coo_deviceILj256EdiiEEvT2_S1_lPKT0_PKT1_PKS1_21rocsparse_index_base_22rocsparse_matrix_type_20rocsparse_fill_mode_23rocsparse_storage_mode_P22rocsparse_data_status_: ; @_ZN9rocsparseL23check_matrix_coo_deviceILj256EdiiEEvT2_S1_lPKT0_PKT1_PKS1_21rocsparse_index_base_22rocsparse_matrix_type_20rocsparse_fill_mode_23rocsparse_storage_mode_P22rocsparse_data_status_
; %bb.0:
	s_load_dwordx2 s[22:23], s[4:5], 0x8
	v_lshl_or_b32 v0, s6, 8, v0
	v_mov_b32_e32 v1, 0
	s_waitcnt lgkmcnt(0)
	v_cmp_gt_i64_e32 vcc, s[22:23], v[0:1]
	s_and_saveexec_b64 s[0:1], vcc
	s_cbranch_execz .LBB1_24
; %bb.1:
	s_load_dwordx2 s[0:1], s[4:5], 0x18
	s_load_dwordx2 s[6:7], s[4:5], 0x0
	v_lshlrev_b64 v[4:5], 2, v[0:1]
	s_load_dwordx4 s[8:11], s[4:5], 0x28
	v_mov_b32_e32 v10, 4
	s_waitcnt lgkmcnt(0)
	v_mov_b32_e32 v3, s1
	v_add_co_u32_e32 v2, vcc, s0, v4
	v_addc_co_u32_e32 v3, vcc, v3, v5, vcc
	global_load_dword v8, v[2:3], off
	s_waitcnt vmcnt(0)
	v_subrev_u32_e32 v6, s8, v8
	v_cmp_lt_i32_e32 vcc, -1, v6
	v_cmp_gt_i32_e64 s[0:1], s6, v6
	s_and_b64 s[0:1], vcc, s[0:1]
	s_xor_b64 s[12:13], s[0:1], -1
	s_and_saveexec_b64 s[14:15], s[0:1]
	s_cbranch_execz .LBB1_22
; %bb.2:
	s_load_dwordx2 s[0:1], s[4:5], 0x20
	v_mov_b32_e32 v10, 4
	s_waitcnt lgkmcnt(0)
	v_mov_b32_e32 v6, s1
	v_add_co_u32_e32 v4, vcc, s0, v4
	v_addc_co_u32_e32 v5, vcc, v6, v5, vcc
	global_load_dword v9, v[4:5], off
	s_waitcnt vmcnt(0)
	v_subrev_u32_e32 v6, s8, v9
	v_cmp_lt_i32_e32 vcc, -1, v6
	v_cmp_gt_i32_e64 s[0:1], s7, v6
	s_and_b64 s[0:1], vcc, s[0:1]
	s_xor_b64 s[16:17], s[0:1], -1
	s_and_saveexec_b64 s[18:19], s[0:1]
	s_cbranch_execz .LBB1_21
; %bb.3:
	s_load_dwordx2 s[0:1], s[4:5], 0x10
	v_lshlrev_b64 v[6:7], 3, v[0:1]
	s_mov_b32 s2, 0
	s_mov_b32 s3, 0x7ff00000
	s_waitcnt lgkmcnt(0)
	v_mov_b32_e32 v10, s1
	v_add_co_u32_e32 v6, vcc, s0, v6
	v_addc_co_u32_e32 v7, vcc, v10, v7, vcc
	global_load_dwordx2 v[6:7], v[6:7], off
	v_mov_b32_e32 v10, 1
	s_waitcnt vmcnt(0)
	v_cmp_eq_f64_e64 s[0:1], s[2:3], v[6:7]
	v_cmp_neq_f64_e32 vcc, s[2:3], v[6:7]
	s_and_saveexec_b64 s[20:21], vcc
	s_cbranch_execz .LBB1_20
; %bb.4:
	v_cmp_o_f64_e32 vcc, v[6:7], v[6:7]
	s_mov_b64 s[2:3], -1
	v_mov_b32_e32 v10, 2
	s_and_saveexec_b64 s[24:25], vcc
	s_cbranch_execz .LBB1_19
; %bb.5:
	s_cmp_lg_u32 s9, 0
	s_cbranch_scc0 .LBB1_8
; %bb.6:
	s_cmp_lg_u32 s10, 0
	s_cbranch_scc0 .LBB1_9
; %bb.7:
	v_cmp_le_i32_e32 vcc, v8, v9
	s_mov_b64 s[2:3], 0
	s_mov_b64 s[26:27], -1
	s_mov_b32 s6, 7
	s_and_b64 s[30:31], vcc, exec
	s_branch .LBB1_10
.LBB1_8:
	s_mov_b64 s[30:31], -1
	s_mov_b64 s[26:27], 0
	s_mov_b32 s6, 2
	s_branch .LBB1_12
.LBB1_9:
	s_mov_b64 s[30:31], 0
	s_mov_b32 s6, 2
	s_mov_b64 s[26:27], 0
.LBB1_10:
	s_andn2_b64 vcc, exec, s[2:3]
	s_cbranch_vccnz .LBB1_12
; %bb.11:
	v_cmp_lt_i32_e32 vcc, v8, v9
	v_cmp_ge_i32_e64 s[2:3], v8, v9
	s_andn2_b64 s[26:27], s[26:27], exec
	s_and_b64 s[28:29], vcc, exec
	s_or_b64 s[26:27], s[26:27], s[28:29]
	s_andn2_b64 s[28:29], s[30:31], exec
	s_and_b64 s[2:3], s[2:3], exec
	s_mov_b32 s6, 7
	s_or_b64 s[30:31], s[28:29], s[2:3]
.LBB1_12:
	v_mov_b32_e32 v10, s6
	s_and_saveexec_b64 s[28:29], s[30:31]
	s_cbranch_execz .LBB1_18
; %bb.13:
	s_cmp_eq_u32 s11, 0
	s_cselect_b64 s[2:3], -1, 0
	s_add_u32 s10, s22, -1
	s_addc_u32 s11, s23, -1
	v_cmp_gt_u64_e32 vcc, s[10:11], v[0:1]
	v_mov_b32_e32 v10, s6
	s_and_b64 s[22:23], s[2:3], vcc
	s_mov_b64 s[2:3], 0
	s_and_saveexec_b64 s[10:11], s[22:23]
	s_cbranch_execz .LBB1_17
; %bb.14:
	global_load_dword v0, v[2:3], off offset:4
	v_mov_b32_e32 v10, s6
	s_waitcnt vmcnt(0)
	v_cmp_eq_u32_e32 vcc, v8, v0
	s_and_saveexec_b64 s[22:23], vcc
	s_cbranch_execz .LBB1_16
; %bb.15:
	global_load_dword v0, v[4:5], off offset:4
	v_mov_b32_e32 v10, 6
	s_waitcnt vmcnt(0)
	v_subrev_u32_e32 v1, s8, v0
	v_cmp_lt_i32_e64 s[2:3], -1, v1
	v_cmp_gt_i32_e64 s[6:7], s7, v1
	v_cmp_gt_i32_e32 vcc, v9, v0
	s_and_b64 s[2:3], s[2:3], s[6:7]
	s_and_b64 s[2:3], vcc, s[2:3]
	s_and_b64 s[2:3], s[2:3], exec
.LBB1_16:
	s_or_b64 exec, exec, s[22:23]
	s_and_b64 s[2:3], s[2:3], exec
.LBB1_17:
	s_or_b64 exec, exec, s[10:11]
	s_andn2_b64 s[6:7], s[26:27], exec
	s_and_b64 s[2:3], s[2:3], exec
	s_or_b64 s[26:27], s[6:7], s[2:3]
.LBB1_18:
	s_or_b64 exec, exec, s[28:29]
	s_orn2_b64 s[2:3], s[26:27], exec
.LBB1_19:
	s_or_b64 exec, exec, s[24:25]
	s_andn2_b64 s[0:1], s[0:1], exec
	s_and_b64 s[2:3], s[2:3], exec
	s_or_b64 s[0:1], s[0:1], s[2:3]
.LBB1_20:
	s_or_b64 exec, exec, s[20:21]
	s_andn2_b64 s[2:3], s[16:17], exec
	s_and_b64 s[0:1], s[0:1], exec
	s_or_b64 s[16:17], s[2:3], s[0:1]
.LBB1_21:
	s_or_b64 exec, exec, s[18:19]
	s_andn2_b64 s[0:1], s[12:13], exec
	s_and_b64 s[2:3], s[16:17], exec
	s_or_b64 s[12:13], s[0:1], s[2:3]
.LBB1_22:
	s_or_b64 exec, exec, s[14:15]
	s_and_b64 exec, exec, s[12:13]
	s_cbranch_execz .LBB1_24
; %bb.23:
	s_load_dwordx2 s[0:1], s[4:5], 0x38
	v_mov_b32_e32 v0, 0
	s_waitcnt lgkmcnt(0)
	global_store_dword v0, v10, s[0:1]
.LBB1_24:
	s_endpgm
	.section	.rodata,"a",@progbits
	.p2align	6, 0x0
	.amdhsa_kernel _ZN9rocsparseL23check_matrix_coo_deviceILj256EdiiEEvT2_S1_lPKT0_PKT1_PKS1_21rocsparse_index_base_22rocsparse_matrix_type_20rocsparse_fill_mode_23rocsparse_storage_mode_P22rocsparse_data_status_
		.amdhsa_group_segment_fixed_size 0
		.amdhsa_private_segment_fixed_size 0
		.amdhsa_kernarg_size 64
		.amdhsa_user_sgpr_count 6
		.amdhsa_user_sgpr_private_segment_buffer 1
		.amdhsa_user_sgpr_dispatch_ptr 0
		.amdhsa_user_sgpr_queue_ptr 0
		.amdhsa_user_sgpr_kernarg_segment_ptr 1
		.amdhsa_user_sgpr_dispatch_id 0
		.amdhsa_user_sgpr_flat_scratch_init 0
		.amdhsa_user_sgpr_private_segment_size 0
		.amdhsa_uses_dynamic_stack 0
		.amdhsa_system_sgpr_private_segment_wavefront_offset 0
		.amdhsa_system_sgpr_workgroup_id_x 1
		.amdhsa_system_sgpr_workgroup_id_y 0
		.amdhsa_system_sgpr_workgroup_id_z 0
		.amdhsa_system_sgpr_workgroup_info 0
		.amdhsa_system_vgpr_workitem_id 0
		.amdhsa_next_free_vgpr 11
		.amdhsa_next_free_sgpr 32
		.amdhsa_reserve_vcc 1
		.amdhsa_reserve_flat_scratch 0
		.amdhsa_float_round_mode_32 0
		.amdhsa_float_round_mode_16_64 0
		.amdhsa_float_denorm_mode_32 3
		.amdhsa_float_denorm_mode_16_64 3
		.amdhsa_dx10_clamp 1
		.amdhsa_ieee_mode 1
		.amdhsa_fp16_overflow 0
		.amdhsa_exception_fp_ieee_invalid_op 0
		.amdhsa_exception_fp_denorm_src 0
		.amdhsa_exception_fp_ieee_div_zero 0
		.amdhsa_exception_fp_ieee_overflow 0
		.amdhsa_exception_fp_ieee_underflow 0
		.amdhsa_exception_fp_ieee_inexact 0
		.amdhsa_exception_int_div_zero 0
	.end_amdhsa_kernel
	.section	.text._ZN9rocsparseL23check_matrix_coo_deviceILj256EdiiEEvT2_S1_lPKT0_PKT1_PKS1_21rocsparse_index_base_22rocsparse_matrix_type_20rocsparse_fill_mode_23rocsparse_storage_mode_P22rocsparse_data_status_,"axG",@progbits,_ZN9rocsparseL23check_matrix_coo_deviceILj256EdiiEEvT2_S1_lPKT0_PKT1_PKS1_21rocsparse_index_base_22rocsparse_matrix_type_20rocsparse_fill_mode_23rocsparse_storage_mode_P22rocsparse_data_status_,comdat
.Lfunc_end1:
	.size	_ZN9rocsparseL23check_matrix_coo_deviceILj256EdiiEEvT2_S1_lPKT0_PKT1_PKS1_21rocsparse_index_base_22rocsparse_matrix_type_20rocsparse_fill_mode_23rocsparse_storage_mode_P22rocsparse_data_status_, .Lfunc_end1-_ZN9rocsparseL23check_matrix_coo_deviceILj256EdiiEEvT2_S1_lPKT0_PKT1_PKS1_21rocsparse_index_base_22rocsparse_matrix_type_20rocsparse_fill_mode_23rocsparse_storage_mode_P22rocsparse_data_status_
                                        ; -- End function
	.set _ZN9rocsparseL23check_matrix_coo_deviceILj256EdiiEEvT2_S1_lPKT0_PKT1_PKS1_21rocsparse_index_base_22rocsparse_matrix_type_20rocsparse_fill_mode_23rocsparse_storage_mode_P22rocsparse_data_status_.num_vgpr, 11
	.set _ZN9rocsparseL23check_matrix_coo_deviceILj256EdiiEEvT2_S1_lPKT0_PKT1_PKS1_21rocsparse_index_base_22rocsparse_matrix_type_20rocsparse_fill_mode_23rocsparse_storage_mode_P22rocsparse_data_status_.num_agpr, 0
	.set _ZN9rocsparseL23check_matrix_coo_deviceILj256EdiiEEvT2_S1_lPKT0_PKT1_PKS1_21rocsparse_index_base_22rocsparse_matrix_type_20rocsparse_fill_mode_23rocsparse_storage_mode_P22rocsparse_data_status_.numbered_sgpr, 32
	.set _ZN9rocsparseL23check_matrix_coo_deviceILj256EdiiEEvT2_S1_lPKT0_PKT1_PKS1_21rocsparse_index_base_22rocsparse_matrix_type_20rocsparse_fill_mode_23rocsparse_storage_mode_P22rocsparse_data_status_.num_named_barrier, 0
	.set _ZN9rocsparseL23check_matrix_coo_deviceILj256EdiiEEvT2_S1_lPKT0_PKT1_PKS1_21rocsparse_index_base_22rocsparse_matrix_type_20rocsparse_fill_mode_23rocsparse_storage_mode_P22rocsparse_data_status_.private_seg_size, 0
	.set _ZN9rocsparseL23check_matrix_coo_deviceILj256EdiiEEvT2_S1_lPKT0_PKT1_PKS1_21rocsparse_index_base_22rocsparse_matrix_type_20rocsparse_fill_mode_23rocsparse_storage_mode_P22rocsparse_data_status_.uses_vcc, 1
	.set _ZN9rocsparseL23check_matrix_coo_deviceILj256EdiiEEvT2_S1_lPKT0_PKT1_PKS1_21rocsparse_index_base_22rocsparse_matrix_type_20rocsparse_fill_mode_23rocsparse_storage_mode_P22rocsparse_data_status_.uses_flat_scratch, 0
	.set _ZN9rocsparseL23check_matrix_coo_deviceILj256EdiiEEvT2_S1_lPKT0_PKT1_PKS1_21rocsparse_index_base_22rocsparse_matrix_type_20rocsparse_fill_mode_23rocsparse_storage_mode_P22rocsparse_data_status_.has_dyn_sized_stack, 0
	.set _ZN9rocsparseL23check_matrix_coo_deviceILj256EdiiEEvT2_S1_lPKT0_PKT1_PKS1_21rocsparse_index_base_22rocsparse_matrix_type_20rocsparse_fill_mode_23rocsparse_storage_mode_P22rocsparse_data_status_.has_recursion, 0
	.set _ZN9rocsparseL23check_matrix_coo_deviceILj256EdiiEEvT2_S1_lPKT0_PKT1_PKS1_21rocsparse_index_base_22rocsparse_matrix_type_20rocsparse_fill_mode_23rocsparse_storage_mode_P22rocsparse_data_status_.has_indirect_call, 0
	.section	.AMDGPU.csdata,"",@progbits
; Kernel info:
; codeLenInByte = 672
; TotalNumSgprs: 36
; NumVgprs: 11
; ScratchSize: 0
; MemoryBound: 0
; FloatMode: 240
; IeeeMode: 1
; LDSByteSize: 0 bytes/workgroup (compile time only)
; SGPRBlocks: 4
; VGPRBlocks: 2
; NumSGPRsForWavesPerEU: 36
; NumVGPRsForWavesPerEU: 11
; Occupancy: 10
; WaveLimiterHint : 0
; COMPUTE_PGM_RSRC2:SCRATCH_EN: 0
; COMPUTE_PGM_RSRC2:USER_SGPR: 6
; COMPUTE_PGM_RSRC2:TRAP_HANDLER: 0
; COMPUTE_PGM_RSRC2:TGID_X_EN: 1
; COMPUTE_PGM_RSRC2:TGID_Y_EN: 0
; COMPUTE_PGM_RSRC2:TGID_Z_EN: 0
; COMPUTE_PGM_RSRC2:TIDIG_COMP_CNT: 0
	.section	.text._ZN9rocsparseL23check_matrix_coo_deviceILj256E21rocsparse_complex_numIfEiiEEvT2_S3_lPKT0_PKT1_PKS3_21rocsparse_index_base_22rocsparse_matrix_type_20rocsparse_fill_mode_23rocsparse_storage_mode_P22rocsparse_data_status_,"axG",@progbits,_ZN9rocsparseL23check_matrix_coo_deviceILj256E21rocsparse_complex_numIfEiiEEvT2_S3_lPKT0_PKT1_PKS3_21rocsparse_index_base_22rocsparse_matrix_type_20rocsparse_fill_mode_23rocsparse_storage_mode_P22rocsparse_data_status_,comdat
	.globl	_ZN9rocsparseL23check_matrix_coo_deviceILj256E21rocsparse_complex_numIfEiiEEvT2_S3_lPKT0_PKT1_PKS3_21rocsparse_index_base_22rocsparse_matrix_type_20rocsparse_fill_mode_23rocsparse_storage_mode_P22rocsparse_data_status_ ; -- Begin function _ZN9rocsparseL23check_matrix_coo_deviceILj256E21rocsparse_complex_numIfEiiEEvT2_S3_lPKT0_PKT1_PKS3_21rocsparse_index_base_22rocsparse_matrix_type_20rocsparse_fill_mode_23rocsparse_storage_mode_P22rocsparse_data_status_
	.p2align	8
	.type	_ZN9rocsparseL23check_matrix_coo_deviceILj256E21rocsparse_complex_numIfEiiEEvT2_S3_lPKT0_PKT1_PKS3_21rocsparse_index_base_22rocsparse_matrix_type_20rocsparse_fill_mode_23rocsparse_storage_mode_P22rocsparse_data_status_,@function
_ZN9rocsparseL23check_matrix_coo_deviceILj256E21rocsparse_complex_numIfEiiEEvT2_S3_lPKT0_PKT1_PKS3_21rocsparse_index_base_22rocsparse_matrix_type_20rocsparse_fill_mode_23rocsparse_storage_mode_P22rocsparse_data_status_: ; @_ZN9rocsparseL23check_matrix_coo_deviceILj256E21rocsparse_complex_numIfEiiEEvT2_S3_lPKT0_PKT1_PKS3_21rocsparse_index_base_22rocsparse_matrix_type_20rocsparse_fill_mode_23rocsparse_storage_mode_P22rocsparse_data_status_
; %bb.0:
	s_load_dwordx2 s[20:21], s[4:5], 0x8
	v_lshl_or_b32 v0, s6, 8, v0
	v_mov_b32_e32 v1, 0
	s_waitcnt lgkmcnt(0)
	v_cmp_gt_i64_e32 vcc, s[20:21], v[0:1]
	s_and_saveexec_b64 s[0:1], vcc
	s_cbranch_execz .LBB2_24
; %bb.1:
	s_load_dwordx2 s[0:1], s[4:5], 0x18
	s_load_dwordx2 s[2:3], s[4:5], 0x0
	v_lshlrev_b64 v[4:5], 2, v[0:1]
	s_load_dwordx4 s[8:11], s[4:5], 0x28
	v_mov_b32_e32 v10, 4
	s_waitcnt lgkmcnt(0)
	v_mov_b32_e32 v3, s1
	v_add_co_u32_e32 v2, vcc, s0, v4
	v_addc_co_u32_e32 v3, vcc, v3, v5, vcc
	global_load_dword v8, v[2:3], off
	s_waitcnt vmcnt(0)
	v_subrev_u32_e32 v6, s8, v8
	v_cmp_lt_i32_e32 vcc, -1, v6
	v_cmp_gt_i32_e64 s[0:1], s2, v6
	s_and_b64 s[0:1], vcc, s[0:1]
	s_xor_b64 s[6:7], s[0:1], -1
	s_and_saveexec_b64 s[12:13], s[0:1]
	s_cbranch_execz .LBB2_22
; %bb.2:
	s_load_dwordx2 s[0:1], s[4:5], 0x20
	v_mov_b32_e32 v10, 4
	s_waitcnt lgkmcnt(0)
	v_mov_b32_e32 v6, s1
	v_add_co_u32_e32 v4, vcc, s0, v4
	v_addc_co_u32_e32 v5, vcc, v6, v5, vcc
	global_load_dword v9, v[4:5], off
	s_waitcnt vmcnt(0)
	v_subrev_u32_e32 v6, s8, v9
	v_cmp_lt_i32_e32 vcc, -1, v6
	v_cmp_gt_i32_e64 s[0:1], s3, v6
	s_and_b64 s[0:1], vcc, s[0:1]
	s_xor_b64 s[14:15], s[0:1], -1
	s_and_saveexec_b64 s[16:17], s[0:1]
	s_cbranch_execz .LBB2_21
; %bb.3:
	s_load_dwordx2 s[0:1], s[4:5], 0x10
	v_lshlrev_b64 v[6:7], 3, v[0:1]
	s_mov_b64 s[26:27], -1
	s_waitcnt lgkmcnt(0)
	v_mov_b32_e32 v10, s1
	v_add_co_u32_e32 v6, vcc, s0, v6
	v_addc_co_u32_e32 v7, vcc, v10, v7, vcc
	global_load_dwordx2 v[6:7], v[6:7], off
	s_mov_b32 s0, 0x7f800000
	v_mov_b32_e32 v10, 1
	s_waitcnt vmcnt(0)
	v_cmp_eq_f32_e32 vcc, s0, v6
	v_cmp_eq_f32_e64 s[0:1], s0, v7
	s_or_b64 s[18:19], vcc, s[0:1]
	s_xor_b64 s[0:1], s[18:19], -1
	s_and_saveexec_b64 s[22:23], s[0:1]
	s_cbranch_execz .LBB2_20
; %bb.4:
	v_cmp_o_f32_e32 vcc, v6, v7
	v_mov_b32_e32 v10, 2
	s_and_saveexec_b64 s[24:25], vcc
	s_cbranch_execz .LBB2_19
; %bb.5:
	s_cmp_lg_u32 s9, 0
	s_cbranch_scc0 .LBB2_8
; %bb.6:
	s_cmp_lg_u32 s10, 0
	s_cbranch_scc0 .LBB2_9
; %bb.7:
	v_cmp_le_i32_e32 vcc, v8, v9
	s_mov_b64 s[0:1], 0
	s_mov_b32 s2, 7
	s_and_b64 s[30:31], vcc, exec
	s_branch .LBB2_10
.LBB2_8:
	s_mov_b64 s[30:31], -1
	s_mov_b64 s[26:27], 0
	s_mov_b32 s2, 2
	s_branch .LBB2_12
.LBB2_9:
	s_mov_b64 s[0:1], -1
	s_mov_b64 s[30:31], 0
	s_mov_b32 s2, 2
	s_mov_b64 s[26:27], 0
.LBB2_10:
	s_andn2_b64 vcc, exec, s[0:1]
	s_cbranch_vccnz .LBB2_12
; %bb.11:
	v_cmp_lt_i32_e32 vcc, v8, v9
	v_cmp_ge_i32_e64 s[0:1], v8, v9
	s_andn2_b64 s[26:27], s[26:27], exec
	s_and_b64 s[28:29], vcc, exec
	s_or_b64 s[26:27], s[26:27], s[28:29]
	s_andn2_b64 s[28:29], s[30:31], exec
	s_and_b64 s[0:1], s[0:1], exec
	s_mov_b32 s2, 7
	s_or_b64 s[30:31], s[28:29], s[0:1]
.LBB2_12:
	v_mov_b32_e32 v10, s2
	s_and_saveexec_b64 s[28:29], s[30:31]
	s_cbranch_execz .LBB2_18
; %bb.13:
	s_cmp_eq_u32 s11, 0
	s_cselect_b64 s[0:1], -1, 0
	s_add_u32 s10, s20, -1
	s_addc_u32 s11, s21, -1
	v_cmp_gt_u64_e32 vcc, s[10:11], v[0:1]
	v_mov_b32_e32 v10, s2
	s_and_b64 s[20:21], s[0:1], vcc
	s_mov_b64 s[0:1], 0
	s_and_saveexec_b64 s[10:11], s[20:21]
	s_cbranch_execz .LBB2_17
; %bb.14:
	global_load_dword v0, v[2:3], off offset:4
	v_mov_b32_e32 v10, s2
	s_waitcnt vmcnt(0)
	v_cmp_eq_u32_e32 vcc, v8, v0
	s_and_saveexec_b64 s[20:21], vcc
	s_cbranch_execz .LBB2_16
; %bb.15:
	global_load_dword v0, v[4:5], off offset:4
	v_mov_b32_e32 v10, 6
	s_waitcnt vmcnt(0)
	v_subrev_u32_e32 v1, s8, v0
	v_cmp_lt_i32_e64 s[0:1], -1, v1
	v_cmp_gt_i32_e64 s[2:3], s3, v1
	v_cmp_gt_i32_e32 vcc, v9, v0
	s_and_b64 s[0:1], s[0:1], s[2:3]
	s_and_b64 s[0:1], vcc, s[0:1]
	s_and_b64 s[0:1], s[0:1], exec
.LBB2_16:
	s_or_b64 exec, exec, s[20:21]
	s_and_b64 s[0:1], s[0:1], exec
.LBB2_17:
	s_or_b64 exec, exec, s[10:11]
	s_andn2_b64 s[2:3], s[26:27], exec
	s_and_b64 s[0:1], s[0:1], exec
	s_or_b64 s[26:27], s[2:3], s[0:1]
.LBB2_18:
	s_or_b64 exec, exec, s[28:29]
	s_orn2_b64 s[26:27], s[26:27], exec
.LBB2_19:
	s_or_b64 exec, exec, s[24:25]
	s_andn2_b64 s[0:1], s[18:19], exec
	s_and_b64 s[2:3], s[26:27], exec
	s_or_b64 s[18:19], s[0:1], s[2:3]
.LBB2_20:
	s_or_b64 exec, exec, s[22:23]
	s_andn2_b64 s[0:1], s[14:15], exec
	s_and_b64 s[2:3], s[18:19], exec
	s_or_b64 s[14:15], s[0:1], s[2:3]
.LBB2_21:
	s_or_b64 exec, exec, s[16:17]
	s_andn2_b64 s[0:1], s[6:7], exec
	s_and_b64 s[2:3], s[14:15], exec
	s_or_b64 s[6:7], s[0:1], s[2:3]
.LBB2_22:
	s_or_b64 exec, exec, s[12:13]
	s_and_b64 exec, exec, s[6:7]
	s_cbranch_execz .LBB2_24
; %bb.23:
	s_load_dwordx2 s[0:1], s[4:5], 0x38
	v_mov_b32_e32 v0, 0
	s_waitcnt lgkmcnt(0)
	global_store_dword v0, v10, s[0:1]
.LBB2_24:
	s_endpgm
	.section	.rodata,"a",@progbits
	.p2align	6, 0x0
	.amdhsa_kernel _ZN9rocsparseL23check_matrix_coo_deviceILj256E21rocsparse_complex_numIfEiiEEvT2_S3_lPKT0_PKT1_PKS3_21rocsparse_index_base_22rocsparse_matrix_type_20rocsparse_fill_mode_23rocsparse_storage_mode_P22rocsparse_data_status_
		.amdhsa_group_segment_fixed_size 0
		.amdhsa_private_segment_fixed_size 0
		.amdhsa_kernarg_size 64
		.amdhsa_user_sgpr_count 6
		.amdhsa_user_sgpr_private_segment_buffer 1
		.amdhsa_user_sgpr_dispatch_ptr 0
		.amdhsa_user_sgpr_queue_ptr 0
		.amdhsa_user_sgpr_kernarg_segment_ptr 1
		.amdhsa_user_sgpr_dispatch_id 0
		.amdhsa_user_sgpr_flat_scratch_init 0
		.amdhsa_user_sgpr_private_segment_size 0
		.amdhsa_uses_dynamic_stack 0
		.amdhsa_system_sgpr_private_segment_wavefront_offset 0
		.amdhsa_system_sgpr_workgroup_id_x 1
		.amdhsa_system_sgpr_workgroup_id_y 0
		.amdhsa_system_sgpr_workgroup_id_z 0
		.amdhsa_system_sgpr_workgroup_info 0
		.amdhsa_system_vgpr_workitem_id 0
		.amdhsa_next_free_vgpr 11
		.amdhsa_next_free_sgpr 32
		.amdhsa_reserve_vcc 1
		.amdhsa_reserve_flat_scratch 0
		.amdhsa_float_round_mode_32 0
		.amdhsa_float_round_mode_16_64 0
		.amdhsa_float_denorm_mode_32 3
		.amdhsa_float_denorm_mode_16_64 3
		.amdhsa_dx10_clamp 1
		.amdhsa_ieee_mode 1
		.amdhsa_fp16_overflow 0
		.amdhsa_exception_fp_ieee_invalid_op 0
		.amdhsa_exception_fp_denorm_src 0
		.amdhsa_exception_fp_ieee_div_zero 0
		.amdhsa_exception_fp_ieee_overflow 0
		.amdhsa_exception_fp_ieee_underflow 0
		.amdhsa_exception_fp_ieee_inexact 0
		.amdhsa_exception_int_div_zero 0
	.end_amdhsa_kernel
	.section	.text._ZN9rocsparseL23check_matrix_coo_deviceILj256E21rocsparse_complex_numIfEiiEEvT2_S3_lPKT0_PKT1_PKS3_21rocsparse_index_base_22rocsparse_matrix_type_20rocsparse_fill_mode_23rocsparse_storage_mode_P22rocsparse_data_status_,"axG",@progbits,_ZN9rocsparseL23check_matrix_coo_deviceILj256E21rocsparse_complex_numIfEiiEEvT2_S3_lPKT0_PKT1_PKS3_21rocsparse_index_base_22rocsparse_matrix_type_20rocsparse_fill_mode_23rocsparse_storage_mode_P22rocsparse_data_status_,comdat
.Lfunc_end2:
	.size	_ZN9rocsparseL23check_matrix_coo_deviceILj256E21rocsparse_complex_numIfEiiEEvT2_S3_lPKT0_PKT1_PKS3_21rocsparse_index_base_22rocsparse_matrix_type_20rocsparse_fill_mode_23rocsparse_storage_mode_P22rocsparse_data_status_, .Lfunc_end2-_ZN9rocsparseL23check_matrix_coo_deviceILj256E21rocsparse_complex_numIfEiiEEvT2_S3_lPKT0_PKT1_PKS3_21rocsparse_index_base_22rocsparse_matrix_type_20rocsparse_fill_mode_23rocsparse_storage_mode_P22rocsparse_data_status_
                                        ; -- End function
	.set _ZN9rocsparseL23check_matrix_coo_deviceILj256E21rocsparse_complex_numIfEiiEEvT2_S3_lPKT0_PKT1_PKS3_21rocsparse_index_base_22rocsparse_matrix_type_20rocsparse_fill_mode_23rocsparse_storage_mode_P22rocsparse_data_status_.num_vgpr, 11
	.set _ZN9rocsparseL23check_matrix_coo_deviceILj256E21rocsparse_complex_numIfEiiEEvT2_S3_lPKT0_PKT1_PKS3_21rocsparse_index_base_22rocsparse_matrix_type_20rocsparse_fill_mode_23rocsparse_storage_mode_P22rocsparse_data_status_.num_agpr, 0
	.set _ZN9rocsparseL23check_matrix_coo_deviceILj256E21rocsparse_complex_numIfEiiEEvT2_S3_lPKT0_PKT1_PKS3_21rocsparse_index_base_22rocsparse_matrix_type_20rocsparse_fill_mode_23rocsparse_storage_mode_P22rocsparse_data_status_.numbered_sgpr, 32
	.set _ZN9rocsparseL23check_matrix_coo_deviceILj256E21rocsparse_complex_numIfEiiEEvT2_S3_lPKT0_PKT1_PKS3_21rocsparse_index_base_22rocsparse_matrix_type_20rocsparse_fill_mode_23rocsparse_storage_mode_P22rocsparse_data_status_.num_named_barrier, 0
	.set _ZN9rocsparseL23check_matrix_coo_deviceILj256E21rocsparse_complex_numIfEiiEEvT2_S3_lPKT0_PKT1_PKS3_21rocsparse_index_base_22rocsparse_matrix_type_20rocsparse_fill_mode_23rocsparse_storage_mode_P22rocsparse_data_status_.private_seg_size, 0
	.set _ZN9rocsparseL23check_matrix_coo_deviceILj256E21rocsparse_complex_numIfEiiEEvT2_S3_lPKT0_PKT1_PKS3_21rocsparse_index_base_22rocsparse_matrix_type_20rocsparse_fill_mode_23rocsparse_storage_mode_P22rocsparse_data_status_.uses_vcc, 1
	.set _ZN9rocsparseL23check_matrix_coo_deviceILj256E21rocsparse_complex_numIfEiiEEvT2_S3_lPKT0_PKT1_PKS3_21rocsparse_index_base_22rocsparse_matrix_type_20rocsparse_fill_mode_23rocsparse_storage_mode_P22rocsparse_data_status_.uses_flat_scratch, 0
	.set _ZN9rocsparseL23check_matrix_coo_deviceILj256E21rocsparse_complex_numIfEiiEEvT2_S3_lPKT0_PKT1_PKS3_21rocsparse_index_base_22rocsparse_matrix_type_20rocsparse_fill_mode_23rocsparse_storage_mode_P22rocsparse_data_status_.has_dyn_sized_stack, 0
	.set _ZN9rocsparseL23check_matrix_coo_deviceILj256E21rocsparse_complex_numIfEiiEEvT2_S3_lPKT0_PKT1_PKS3_21rocsparse_index_base_22rocsparse_matrix_type_20rocsparse_fill_mode_23rocsparse_storage_mode_P22rocsparse_data_status_.has_recursion, 0
	.set _ZN9rocsparseL23check_matrix_coo_deviceILj256E21rocsparse_complex_numIfEiiEEvT2_S3_lPKT0_PKT1_PKS3_21rocsparse_index_base_22rocsparse_matrix_type_20rocsparse_fill_mode_23rocsparse_storage_mode_P22rocsparse_data_status_.has_indirect_call, 0
	.section	.AMDGPU.csdata,"",@progbits
; Kernel info:
; codeLenInByte = 676
; TotalNumSgprs: 36
; NumVgprs: 11
; ScratchSize: 0
; MemoryBound: 0
; FloatMode: 240
; IeeeMode: 1
; LDSByteSize: 0 bytes/workgroup (compile time only)
; SGPRBlocks: 4
; VGPRBlocks: 2
; NumSGPRsForWavesPerEU: 36
; NumVGPRsForWavesPerEU: 11
; Occupancy: 10
; WaveLimiterHint : 0
; COMPUTE_PGM_RSRC2:SCRATCH_EN: 0
; COMPUTE_PGM_RSRC2:USER_SGPR: 6
; COMPUTE_PGM_RSRC2:TRAP_HANDLER: 0
; COMPUTE_PGM_RSRC2:TGID_X_EN: 1
; COMPUTE_PGM_RSRC2:TGID_Y_EN: 0
; COMPUTE_PGM_RSRC2:TGID_Z_EN: 0
; COMPUTE_PGM_RSRC2:TIDIG_COMP_CNT: 0
	.section	.text._ZN9rocsparseL23check_matrix_coo_deviceILj256E21rocsparse_complex_numIdEiiEEvT2_S3_lPKT0_PKT1_PKS3_21rocsparse_index_base_22rocsparse_matrix_type_20rocsparse_fill_mode_23rocsparse_storage_mode_P22rocsparse_data_status_,"axG",@progbits,_ZN9rocsparseL23check_matrix_coo_deviceILj256E21rocsparse_complex_numIdEiiEEvT2_S3_lPKT0_PKT1_PKS3_21rocsparse_index_base_22rocsparse_matrix_type_20rocsparse_fill_mode_23rocsparse_storage_mode_P22rocsparse_data_status_,comdat
	.globl	_ZN9rocsparseL23check_matrix_coo_deviceILj256E21rocsparse_complex_numIdEiiEEvT2_S3_lPKT0_PKT1_PKS3_21rocsparse_index_base_22rocsparse_matrix_type_20rocsparse_fill_mode_23rocsparse_storage_mode_P22rocsparse_data_status_ ; -- Begin function _ZN9rocsparseL23check_matrix_coo_deviceILj256E21rocsparse_complex_numIdEiiEEvT2_S3_lPKT0_PKT1_PKS3_21rocsparse_index_base_22rocsparse_matrix_type_20rocsparse_fill_mode_23rocsparse_storage_mode_P22rocsparse_data_status_
	.p2align	8
	.type	_ZN9rocsparseL23check_matrix_coo_deviceILj256E21rocsparse_complex_numIdEiiEEvT2_S3_lPKT0_PKT1_PKS3_21rocsparse_index_base_22rocsparse_matrix_type_20rocsparse_fill_mode_23rocsparse_storage_mode_P22rocsparse_data_status_,@function
_ZN9rocsparseL23check_matrix_coo_deviceILj256E21rocsparse_complex_numIdEiiEEvT2_S3_lPKT0_PKT1_PKS3_21rocsparse_index_base_22rocsparse_matrix_type_20rocsparse_fill_mode_23rocsparse_storage_mode_P22rocsparse_data_status_: ; @_ZN9rocsparseL23check_matrix_coo_deviceILj256E21rocsparse_complex_numIdEiiEEvT2_S3_lPKT0_PKT1_PKS3_21rocsparse_index_base_22rocsparse_matrix_type_20rocsparse_fill_mode_23rocsparse_storage_mode_P22rocsparse_data_status_
; %bb.0:
	s_load_dwordx2 s[20:21], s[4:5], 0x8
	v_lshl_or_b32 v4, s6, 8, v0
	v_mov_b32_e32 v5, 0
	s_waitcnt lgkmcnt(0)
	v_cmp_gt_i64_e32 vcc, s[20:21], v[4:5]
	s_and_saveexec_b64 s[0:1], vcc
	s_cbranch_execz .LBB3_24
; %bb.1:
	s_load_dwordx2 s[0:1], s[4:5], 0x18
	s_load_dwordx2 s[2:3], s[4:5], 0x0
	v_lshlrev_b64 v[0:1], 2, v[4:5]
	s_load_dwordx4 s[8:11], s[4:5], 0x28
	v_mov_b32_e32 v12, 4
	s_waitcnt lgkmcnt(0)
	v_mov_b32_e32 v2, s1
	v_add_co_u32_e32 v6, vcc, s0, v0
	v_addc_co_u32_e32 v7, vcc, v2, v1, vcc
	global_load_dword v10, v[6:7], off
	s_waitcnt vmcnt(0)
	v_subrev_u32_e32 v2, s8, v10
	v_cmp_lt_i32_e32 vcc, -1, v2
	v_cmp_gt_i32_e64 s[0:1], s2, v2
	s_and_b64 s[0:1], vcc, s[0:1]
	s_xor_b64 s[6:7], s[0:1], -1
	s_and_saveexec_b64 s[12:13], s[0:1]
	s_cbranch_execz .LBB3_22
; %bb.2:
	s_load_dwordx2 s[0:1], s[4:5], 0x20
	v_mov_b32_e32 v12, 4
	s_waitcnt lgkmcnt(0)
	v_mov_b32_e32 v2, s1
	v_add_co_u32_e32 v8, vcc, s0, v0
	v_addc_co_u32_e32 v9, vcc, v2, v1, vcc
	global_load_dword v11, v[8:9], off
	s_waitcnt vmcnt(0)
	v_subrev_u32_e32 v0, s8, v11
	v_cmp_lt_i32_e32 vcc, -1, v0
	v_cmp_gt_i32_e64 s[0:1], s3, v0
	s_and_b64 s[0:1], vcc, s[0:1]
	s_xor_b64 s[14:15], s[0:1], -1
	s_and_saveexec_b64 s[16:17], s[0:1]
	s_cbranch_execz .LBB3_21
; %bb.3:
	s_load_dwordx2 s[0:1], s[4:5], 0x10
	v_lshlrev_b64 v[0:1], 4, v[4:5]
	s_mov_b64 s[26:27], -1
	v_mov_b32_e32 v12, 1
	s_waitcnt lgkmcnt(0)
	v_mov_b32_e32 v2, s1
	v_add_co_u32_e32 v0, vcc, s0, v0
	v_addc_co_u32_e32 v1, vcc, v2, v1, vcc
	global_load_dwordx4 v[0:3], v[0:1], off
	s_mov_b32 s0, 0
	s_mov_b32 s1, 0x7ff00000
	s_waitcnt vmcnt(0)
	v_cmp_eq_f64_e32 vcc, s[0:1], v[0:1]
	v_cmp_eq_f64_e64 s[0:1], s[0:1], v[2:3]
	s_or_b64 s[18:19], vcc, s[0:1]
	s_xor_b64 s[0:1], s[18:19], -1
	s_and_saveexec_b64 s[22:23], s[0:1]
	s_cbranch_execz .LBB3_20
; %bb.4:
	v_cmp_o_f64_e32 vcc, v[0:1], v[2:3]
	v_mov_b32_e32 v12, 2
	s_and_saveexec_b64 s[24:25], vcc
	s_cbranch_execz .LBB3_19
; %bb.5:
	s_cmp_lg_u32 s9, 0
	s_cbranch_scc0 .LBB3_8
; %bb.6:
	s_cmp_lg_u32 s10, 0
	s_cbranch_scc0 .LBB3_9
; %bb.7:
	v_cmp_le_i32_e32 vcc, v10, v11
	s_mov_b64 s[0:1], 0
	s_mov_b32 s2, 7
	s_and_b64 s[30:31], vcc, exec
	s_branch .LBB3_10
.LBB3_8:
	s_mov_b64 s[30:31], -1
	s_mov_b64 s[26:27], 0
	s_mov_b32 s2, 2
	s_branch .LBB3_12
.LBB3_9:
	s_mov_b64 s[0:1], -1
	s_mov_b64 s[30:31], 0
	s_mov_b32 s2, 2
	s_mov_b64 s[26:27], 0
.LBB3_10:
	s_andn2_b64 vcc, exec, s[0:1]
	s_cbranch_vccnz .LBB3_12
; %bb.11:
	v_cmp_lt_i32_e32 vcc, v10, v11
	v_cmp_ge_i32_e64 s[0:1], v10, v11
	s_andn2_b64 s[26:27], s[26:27], exec
	s_and_b64 s[28:29], vcc, exec
	s_or_b64 s[26:27], s[26:27], s[28:29]
	s_andn2_b64 s[28:29], s[30:31], exec
	s_and_b64 s[0:1], s[0:1], exec
	s_mov_b32 s2, 7
	s_or_b64 s[30:31], s[28:29], s[0:1]
.LBB3_12:
	v_mov_b32_e32 v12, s2
	s_and_saveexec_b64 s[28:29], s[30:31]
	s_cbranch_execz .LBB3_18
; %bb.13:
	s_cmp_eq_u32 s11, 0
	s_cselect_b64 s[0:1], -1, 0
	s_add_u32 s10, s20, -1
	s_addc_u32 s11, s21, -1
	v_cmp_gt_u64_e32 vcc, s[10:11], v[4:5]
	v_mov_b32_e32 v12, s2
	s_and_b64 s[20:21], s[0:1], vcc
	s_mov_b64 s[0:1], 0
	s_and_saveexec_b64 s[10:11], s[20:21]
	s_cbranch_execz .LBB3_17
; %bb.14:
	global_load_dword v0, v[6:7], off offset:4
	v_mov_b32_e32 v12, s2
	s_waitcnt vmcnt(0)
	v_cmp_eq_u32_e32 vcc, v10, v0
	s_and_saveexec_b64 s[20:21], vcc
	s_cbranch_execz .LBB3_16
; %bb.15:
	global_load_dword v0, v[8:9], off offset:4
	v_mov_b32_e32 v12, 6
	s_waitcnt vmcnt(0)
	v_subrev_u32_e32 v1, s8, v0
	v_cmp_lt_i32_e64 s[0:1], -1, v1
	v_cmp_gt_i32_e64 s[2:3], s3, v1
	v_cmp_gt_i32_e32 vcc, v11, v0
	s_and_b64 s[0:1], s[0:1], s[2:3]
	s_and_b64 s[0:1], vcc, s[0:1]
	s_and_b64 s[0:1], s[0:1], exec
.LBB3_16:
	s_or_b64 exec, exec, s[20:21]
	s_and_b64 s[0:1], s[0:1], exec
.LBB3_17:
	s_or_b64 exec, exec, s[10:11]
	s_andn2_b64 s[2:3], s[26:27], exec
	s_and_b64 s[0:1], s[0:1], exec
	s_or_b64 s[26:27], s[2:3], s[0:1]
.LBB3_18:
	s_or_b64 exec, exec, s[28:29]
	s_orn2_b64 s[26:27], s[26:27], exec
.LBB3_19:
	s_or_b64 exec, exec, s[24:25]
	s_andn2_b64 s[0:1], s[18:19], exec
	s_and_b64 s[2:3], s[26:27], exec
	s_or_b64 s[18:19], s[0:1], s[2:3]
.LBB3_20:
	s_or_b64 exec, exec, s[22:23]
	s_andn2_b64 s[0:1], s[14:15], exec
	s_and_b64 s[2:3], s[18:19], exec
	s_or_b64 s[14:15], s[0:1], s[2:3]
.LBB3_21:
	s_or_b64 exec, exec, s[16:17]
	s_andn2_b64 s[0:1], s[6:7], exec
	s_and_b64 s[2:3], s[14:15], exec
	s_or_b64 s[6:7], s[0:1], s[2:3]
.LBB3_22:
	s_or_b64 exec, exec, s[12:13]
	s_and_b64 exec, exec, s[6:7]
	s_cbranch_execz .LBB3_24
; %bb.23:
	s_load_dwordx2 s[0:1], s[4:5], 0x38
	v_mov_b32_e32 v0, 0
	s_waitcnt lgkmcnt(0)
	global_store_dword v0, v12, s[0:1]
.LBB3_24:
	s_endpgm
	.section	.rodata,"a",@progbits
	.p2align	6, 0x0
	.amdhsa_kernel _ZN9rocsparseL23check_matrix_coo_deviceILj256E21rocsparse_complex_numIdEiiEEvT2_S3_lPKT0_PKT1_PKS3_21rocsparse_index_base_22rocsparse_matrix_type_20rocsparse_fill_mode_23rocsparse_storage_mode_P22rocsparse_data_status_
		.amdhsa_group_segment_fixed_size 0
		.amdhsa_private_segment_fixed_size 0
		.amdhsa_kernarg_size 64
		.amdhsa_user_sgpr_count 6
		.amdhsa_user_sgpr_private_segment_buffer 1
		.amdhsa_user_sgpr_dispatch_ptr 0
		.amdhsa_user_sgpr_queue_ptr 0
		.amdhsa_user_sgpr_kernarg_segment_ptr 1
		.amdhsa_user_sgpr_dispatch_id 0
		.amdhsa_user_sgpr_flat_scratch_init 0
		.amdhsa_user_sgpr_private_segment_size 0
		.amdhsa_uses_dynamic_stack 0
		.amdhsa_system_sgpr_private_segment_wavefront_offset 0
		.amdhsa_system_sgpr_workgroup_id_x 1
		.amdhsa_system_sgpr_workgroup_id_y 0
		.amdhsa_system_sgpr_workgroup_id_z 0
		.amdhsa_system_sgpr_workgroup_info 0
		.amdhsa_system_vgpr_workitem_id 0
		.amdhsa_next_free_vgpr 13
		.amdhsa_next_free_sgpr 32
		.amdhsa_reserve_vcc 1
		.amdhsa_reserve_flat_scratch 0
		.amdhsa_float_round_mode_32 0
		.amdhsa_float_round_mode_16_64 0
		.amdhsa_float_denorm_mode_32 3
		.amdhsa_float_denorm_mode_16_64 3
		.amdhsa_dx10_clamp 1
		.amdhsa_ieee_mode 1
		.amdhsa_fp16_overflow 0
		.amdhsa_exception_fp_ieee_invalid_op 0
		.amdhsa_exception_fp_denorm_src 0
		.amdhsa_exception_fp_ieee_div_zero 0
		.amdhsa_exception_fp_ieee_overflow 0
		.amdhsa_exception_fp_ieee_underflow 0
		.amdhsa_exception_fp_ieee_inexact 0
		.amdhsa_exception_int_div_zero 0
	.end_amdhsa_kernel
	.section	.text._ZN9rocsparseL23check_matrix_coo_deviceILj256E21rocsparse_complex_numIdEiiEEvT2_S3_lPKT0_PKT1_PKS3_21rocsparse_index_base_22rocsparse_matrix_type_20rocsparse_fill_mode_23rocsparse_storage_mode_P22rocsparse_data_status_,"axG",@progbits,_ZN9rocsparseL23check_matrix_coo_deviceILj256E21rocsparse_complex_numIdEiiEEvT2_S3_lPKT0_PKT1_PKS3_21rocsparse_index_base_22rocsparse_matrix_type_20rocsparse_fill_mode_23rocsparse_storage_mode_P22rocsparse_data_status_,comdat
.Lfunc_end3:
	.size	_ZN9rocsparseL23check_matrix_coo_deviceILj256E21rocsparse_complex_numIdEiiEEvT2_S3_lPKT0_PKT1_PKS3_21rocsparse_index_base_22rocsparse_matrix_type_20rocsparse_fill_mode_23rocsparse_storage_mode_P22rocsparse_data_status_, .Lfunc_end3-_ZN9rocsparseL23check_matrix_coo_deviceILj256E21rocsparse_complex_numIdEiiEEvT2_S3_lPKT0_PKT1_PKS3_21rocsparse_index_base_22rocsparse_matrix_type_20rocsparse_fill_mode_23rocsparse_storage_mode_P22rocsparse_data_status_
                                        ; -- End function
	.set _ZN9rocsparseL23check_matrix_coo_deviceILj256E21rocsparse_complex_numIdEiiEEvT2_S3_lPKT0_PKT1_PKS3_21rocsparse_index_base_22rocsparse_matrix_type_20rocsparse_fill_mode_23rocsparse_storage_mode_P22rocsparse_data_status_.num_vgpr, 13
	.set _ZN9rocsparseL23check_matrix_coo_deviceILj256E21rocsparse_complex_numIdEiiEEvT2_S3_lPKT0_PKT1_PKS3_21rocsparse_index_base_22rocsparse_matrix_type_20rocsparse_fill_mode_23rocsparse_storage_mode_P22rocsparse_data_status_.num_agpr, 0
	.set _ZN9rocsparseL23check_matrix_coo_deviceILj256E21rocsparse_complex_numIdEiiEEvT2_S3_lPKT0_PKT1_PKS3_21rocsparse_index_base_22rocsparse_matrix_type_20rocsparse_fill_mode_23rocsparse_storage_mode_P22rocsparse_data_status_.numbered_sgpr, 32
	.set _ZN9rocsparseL23check_matrix_coo_deviceILj256E21rocsparse_complex_numIdEiiEEvT2_S3_lPKT0_PKT1_PKS3_21rocsparse_index_base_22rocsparse_matrix_type_20rocsparse_fill_mode_23rocsparse_storage_mode_P22rocsparse_data_status_.num_named_barrier, 0
	.set _ZN9rocsparseL23check_matrix_coo_deviceILj256E21rocsparse_complex_numIdEiiEEvT2_S3_lPKT0_PKT1_PKS3_21rocsparse_index_base_22rocsparse_matrix_type_20rocsparse_fill_mode_23rocsparse_storage_mode_P22rocsparse_data_status_.private_seg_size, 0
	.set _ZN9rocsparseL23check_matrix_coo_deviceILj256E21rocsparse_complex_numIdEiiEEvT2_S3_lPKT0_PKT1_PKS3_21rocsparse_index_base_22rocsparse_matrix_type_20rocsparse_fill_mode_23rocsparse_storage_mode_P22rocsparse_data_status_.uses_vcc, 1
	.set _ZN9rocsparseL23check_matrix_coo_deviceILj256E21rocsparse_complex_numIdEiiEEvT2_S3_lPKT0_PKT1_PKS3_21rocsparse_index_base_22rocsparse_matrix_type_20rocsparse_fill_mode_23rocsparse_storage_mode_P22rocsparse_data_status_.uses_flat_scratch, 0
	.set _ZN9rocsparseL23check_matrix_coo_deviceILj256E21rocsparse_complex_numIdEiiEEvT2_S3_lPKT0_PKT1_PKS3_21rocsparse_index_base_22rocsparse_matrix_type_20rocsparse_fill_mode_23rocsparse_storage_mode_P22rocsparse_data_status_.has_dyn_sized_stack, 0
	.set _ZN9rocsparseL23check_matrix_coo_deviceILj256E21rocsparse_complex_numIdEiiEEvT2_S3_lPKT0_PKT1_PKS3_21rocsparse_index_base_22rocsparse_matrix_type_20rocsparse_fill_mode_23rocsparse_storage_mode_P22rocsparse_data_status_.has_recursion, 0
	.set _ZN9rocsparseL23check_matrix_coo_deviceILj256E21rocsparse_complex_numIdEiiEEvT2_S3_lPKT0_PKT1_PKS3_21rocsparse_index_base_22rocsparse_matrix_type_20rocsparse_fill_mode_23rocsparse_storage_mode_P22rocsparse_data_status_.has_indirect_call, 0
	.section	.AMDGPU.csdata,"",@progbits
; Kernel info:
; codeLenInByte = 680
; TotalNumSgprs: 36
; NumVgprs: 13
; ScratchSize: 0
; MemoryBound: 0
; FloatMode: 240
; IeeeMode: 1
; LDSByteSize: 0 bytes/workgroup (compile time only)
; SGPRBlocks: 4
; VGPRBlocks: 3
; NumSGPRsForWavesPerEU: 36
; NumVGPRsForWavesPerEU: 13
; Occupancy: 10
; WaveLimiterHint : 0
; COMPUTE_PGM_RSRC2:SCRATCH_EN: 0
; COMPUTE_PGM_RSRC2:USER_SGPR: 6
; COMPUTE_PGM_RSRC2:TRAP_HANDLER: 0
; COMPUTE_PGM_RSRC2:TGID_X_EN: 1
; COMPUTE_PGM_RSRC2:TGID_Y_EN: 0
; COMPUTE_PGM_RSRC2:TGID_Z_EN: 0
; COMPUTE_PGM_RSRC2:TIDIG_COMP_CNT: 0
	.section	.text._ZN9rocsparseL23check_matrix_coo_deviceILj256EfllEEvT2_S1_lPKT0_PKT1_PKS1_21rocsparse_index_base_22rocsparse_matrix_type_20rocsparse_fill_mode_23rocsparse_storage_mode_P22rocsparse_data_status_,"axG",@progbits,_ZN9rocsparseL23check_matrix_coo_deviceILj256EfllEEvT2_S1_lPKT0_PKT1_PKS1_21rocsparse_index_base_22rocsparse_matrix_type_20rocsparse_fill_mode_23rocsparse_storage_mode_P22rocsparse_data_status_,comdat
	.globl	_ZN9rocsparseL23check_matrix_coo_deviceILj256EfllEEvT2_S1_lPKT0_PKT1_PKS1_21rocsparse_index_base_22rocsparse_matrix_type_20rocsparse_fill_mode_23rocsparse_storage_mode_P22rocsparse_data_status_ ; -- Begin function _ZN9rocsparseL23check_matrix_coo_deviceILj256EfllEEvT2_S1_lPKT0_PKT1_PKS1_21rocsparse_index_base_22rocsparse_matrix_type_20rocsparse_fill_mode_23rocsparse_storage_mode_P22rocsparse_data_status_
	.p2align	8
	.type	_ZN9rocsparseL23check_matrix_coo_deviceILj256EfllEEvT2_S1_lPKT0_PKT1_PKS1_21rocsparse_index_base_22rocsparse_matrix_type_20rocsparse_fill_mode_23rocsparse_storage_mode_P22rocsparse_data_status_,@function
_ZN9rocsparseL23check_matrix_coo_deviceILj256EfllEEvT2_S1_lPKT0_PKT1_PKS1_21rocsparse_index_base_22rocsparse_matrix_type_20rocsparse_fill_mode_23rocsparse_storage_mode_P22rocsparse_data_status_: ; @_ZN9rocsparseL23check_matrix_coo_deviceILj256EfllEEvT2_S1_lPKT0_PKT1_PKS1_21rocsparse_index_base_22rocsparse_matrix_type_20rocsparse_fill_mode_23rocsparse_storage_mode_P22rocsparse_data_status_
; %bb.0:
	s_load_dwordx2 s[22:23], s[4:5], 0x10
	v_lshl_or_b32 v0, s6, 8, v0
	v_mov_b32_e32 v1, 0
	s_waitcnt lgkmcnt(0)
	v_cmp_gt_i64_e32 vcc, s[22:23], v[0:1]
	s_and_saveexec_b64 s[0:1], vcc
	s_cbranch_execz .LBB4_24
; %bb.1:
	s_load_dwordx2 s[0:1], s[4:5], 0x20
	v_lshlrev_b64 v[6:7], 3, v[0:1]
	v_mov_b32_e32 v10, 4
	s_waitcnt lgkmcnt(0)
	v_mov_b32_e32 v3, s1
	v_add_co_u32_e32 v2, vcc, s0, v6
	v_addc_co_u32_e32 v3, vcc, v3, v7, vcc
	global_load_dwordx2 v[4:5], v[2:3], off
	s_load_dwordx4 s[12:15], s[4:5], 0x30
	s_load_dwordx4 s[8:11], s[4:5], 0x0
	s_waitcnt vmcnt(0) lgkmcnt(0)
	v_subrev_co_u32_e32 v8, vcc, s12, v4
	v_subbrev_co_u32_e32 v9, vcc, 0, v5, vcc
	v_cmp_lt_i64_e32 vcc, -1, v[8:9]
	v_cmp_gt_i64_e64 s[0:1], s[8:9], v[8:9]
	s_and_b64 s[0:1], vcc, s[0:1]
	s_xor_b64 s[8:9], s[0:1], -1
	s_and_saveexec_b64 s[16:17], s[0:1]
	s_cbranch_execz .LBB4_22
; %bb.2:
	s_load_dwordx2 s[0:1], s[4:5], 0x28
	s_waitcnt lgkmcnt(0)
	v_mov_b32_e32 v9, s1
	v_add_co_u32_e32 v8, vcc, s0, v6
	v_addc_co_u32_e32 v9, vcc, v9, v7, vcc
	global_load_dwordx2 v[6:7], v[8:9], off
	s_waitcnt vmcnt(0)
	v_subrev_co_u32_e32 v10, vcc, s12, v6
	v_subbrev_co_u32_e32 v11, vcc, 0, v7, vcc
	v_cmp_lt_i64_e32 vcc, -1, v[10:11]
	v_cmp_gt_i64_e64 s[0:1], s[10:11], v[10:11]
	v_mov_b32_e32 v10, 4
	s_and_b64 s[0:1], vcc, s[0:1]
	s_xor_b64 s[18:19], s[0:1], -1
	s_and_saveexec_b64 s[20:21], s[0:1]
	s_cbranch_execz .LBB4_21
; %bb.3:
	s_load_dwordx2 s[0:1], s[4:5], 0x18
	v_lshlrev_b64 v[10:11], 2, v[0:1]
	s_mov_b32 s2, 0x7f800000
	s_waitcnt lgkmcnt(0)
	v_mov_b32_e32 v12, s1
	v_add_co_u32_e32 v10, vcc, s0, v10
	v_addc_co_u32_e32 v11, vcc, v12, v11, vcc
	global_load_dword v11, v[10:11], off
	v_mov_b32_e32 v10, 1
	s_waitcnt vmcnt(0)
	v_cmp_eq_f32_e64 s[0:1], s2, v11
	v_cmp_neq_f32_e32 vcc, s2, v11
	s_and_saveexec_b64 s[24:25], vcc
	s_cbranch_execz .LBB4_20
; %bb.4:
	v_cmp_o_f32_e32 vcc, v11, v11
	s_mov_b64 s[2:3], -1
	v_mov_b32_e32 v10, 2
	s_and_saveexec_b64 s[26:27], vcc
	s_cbranch_execz .LBB4_19
; %bb.5:
	s_cmp_lg_u32 s13, 0
	s_cbranch_scc0 .LBB4_8
; %bb.6:
	s_cmp_lg_u32 s14, 0
	s_cbranch_scc0 .LBB4_9
; %bb.7:
	v_cmp_le_i64_e32 vcc, v[4:5], v[6:7]
	s_mov_b64 s[2:3], 0
	s_mov_b64 s[28:29], -1
	s_mov_b32 s13, 7
	s_and_b64 s[6:7], vcc, exec
	s_branch .LBB4_10
.LBB4_8:
	s_mov_b64 s[6:7], -1
	s_mov_b64 s[28:29], 0
	s_mov_b32 s13, 2
	s_branch .LBB4_12
.LBB4_9:
	s_mov_b64 s[6:7], 0
	s_mov_b32 s13, 2
	s_mov_b64 s[28:29], 0
.LBB4_10:
	s_andn2_b64 vcc, exec, s[2:3]
	s_cbranch_vccnz .LBB4_12
; %bb.11:
	v_cmp_lt_i64_e32 vcc, v[4:5], v[6:7]
	v_cmp_ge_i64_e64 s[2:3], v[4:5], v[6:7]
	s_andn2_b64 s[28:29], s[28:29], exec
	s_and_b64 s[30:31], vcc, exec
	s_andn2_b64 s[6:7], s[6:7], exec
	s_and_b64 s[2:3], s[2:3], exec
	s_mov_b32 s13, 7
	s_or_b64 s[28:29], s[28:29], s[30:31]
	s_or_b64 s[6:7], s[6:7], s[2:3]
.LBB4_12:
	v_mov_b32_e32 v10, s13
	s_and_saveexec_b64 s[30:31], s[6:7]
	s_cbranch_execz .LBB4_18
; %bb.13:
	s_cmp_eq_u32 s15, 0
	s_cselect_b64 s[2:3], -1, 0
	s_add_u32 s6, s22, -1
	s_addc_u32 s7, s23, -1
	v_cmp_gt_u64_e32 vcc, s[6:7], v[0:1]
	v_mov_b32_e32 v10, s13
	s_and_b64 s[6:7], s[2:3], vcc
	s_mov_b64 s[2:3], 0
	s_and_saveexec_b64 s[14:15], s[6:7]
	s_cbranch_execz .LBB4_17
; %bb.14:
	global_load_dwordx2 v[0:1], v[2:3], off offset:8
	v_mov_b32_e32 v10, s13
	s_waitcnt vmcnt(0)
	v_cmp_eq_u64_e32 vcc, v[4:5], v[0:1]
	s_and_saveexec_b64 s[22:23], vcc
	s_cbranch_execz .LBB4_16
; %bb.15:
	global_load_dwordx2 v[0:1], v[8:9], off offset:8
	v_mov_b32_e32 v10, 6
	s_waitcnt vmcnt(0)
	v_subrev_co_u32_e32 v2, vcc, s12, v0
	v_subbrev_co_u32_e32 v3, vcc, 0, v1, vcc
	v_cmp_lt_i64_e32 vcc, -1, v[2:3]
	v_cmp_gt_i64_e64 s[2:3], s[10:11], v[2:3]
	v_cmp_gt_i64_e64 s[6:7], v[6:7], v[0:1]
	s_and_b64 s[2:3], vcc, s[2:3]
	s_and_b64 s[2:3], s[6:7], s[2:3]
	s_and_b64 s[2:3], s[2:3], exec
.LBB4_16:
	s_or_b64 exec, exec, s[22:23]
	s_and_b64 s[2:3], s[2:3], exec
.LBB4_17:
	s_or_b64 exec, exec, s[14:15]
	s_andn2_b64 s[6:7], s[28:29], exec
	s_and_b64 s[2:3], s[2:3], exec
	s_or_b64 s[28:29], s[6:7], s[2:3]
.LBB4_18:
	s_or_b64 exec, exec, s[30:31]
	s_orn2_b64 s[2:3], s[28:29], exec
.LBB4_19:
	s_or_b64 exec, exec, s[26:27]
	s_andn2_b64 s[0:1], s[0:1], exec
	s_and_b64 s[2:3], s[2:3], exec
	s_or_b64 s[0:1], s[0:1], s[2:3]
.LBB4_20:
	s_or_b64 exec, exec, s[24:25]
	s_andn2_b64 s[2:3], s[18:19], exec
	s_and_b64 s[0:1], s[0:1], exec
	s_or_b64 s[18:19], s[2:3], s[0:1]
.LBB4_21:
	s_or_b64 exec, exec, s[20:21]
	s_andn2_b64 s[0:1], s[8:9], exec
	s_and_b64 s[2:3], s[18:19], exec
	s_or_b64 s[8:9], s[0:1], s[2:3]
.LBB4_22:
	s_or_b64 exec, exec, s[16:17]
	s_and_b64 exec, exec, s[8:9]
	s_cbranch_execz .LBB4_24
; %bb.23:
	s_load_dwordx2 s[0:1], s[4:5], 0x40
	v_mov_b32_e32 v0, 0
	s_waitcnt lgkmcnt(0)
	global_store_dword v0, v10, s[0:1]
.LBB4_24:
	s_endpgm
	.section	.rodata,"a",@progbits
	.p2align	6, 0x0
	.amdhsa_kernel _ZN9rocsparseL23check_matrix_coo_deviceILj256EfllEEvT2_S1_lPKT0_PKT1_PKS1_21rocsparse_index_base_22rocsparse_matrix_type_20rocsparse_fill_mode_23rocsparse_storage_mode_P22rocsparse_data_status_
		.amdhsa_group_segment_fixed_size 0
		.amdhsa_private_segment_fixed_size 0
		.amdhsa_kernarg_size 72
		.amdhsa_user_sgpr_count 6
		.amdhsa_user_sgpr_private_segment_buffer 1
		.amdhsa_user_sgpr_dispatch_ptr 0
		.amdhsa_user_sgpr_queue_ptr 0
		.amdhsa_user_sgpr_kernarg_segment_ptr 1
		.amdhsa_user_sgpr_dispatch_id 0
		.amdhsa_user_sgpr_flat_scratch_init 0
		.amdhsa_user_sgpr_private_segment_size 0
		.amdhsa_uses_dynamic_stack 0
		.amdhsa_system_sgpr_private_segment_wavefront_offset 0
		.amdhsa_system_sgpr_workgroup_id_x 1
		.amdhsa_system_sgpr_workgroup_id_y 0
		.amdhsa_system_sgpr_workgroup_id_z 0
		.amdhsa_system_sgpr_workgroup_info 0
		.amdhsa_system_vgpr_workitem_id 0
		.amdhsa_next_free_vgpr 13
		.amdhsa_next_free_sgpr 32
		.amdhsa_reserve_vcc 1
		.amdhsa_reserve_flat_scratch 0
		.amdhsa_float_round_mode_32 0
		.amdhsa_float_round_mode_16_64 0
		.amdhsa_float_denorm_mode_32 3
		.amdhsa_float_denorm_mode_16_64 3
		.amdhsa_dx10_clamp 1
		.amdhsa_ieee_mode 1
		.amdhsa_fp16_overflow 0
		.amdhsa_exception_fp_ieee_invalid_op 0
		.amdhsa_exception_fp_denorm_src 0
		.amdhsa_exception_fp_ieee_div_zero 0
		.amdhsa_exception_fp_ieee_overflow 0
		.amdhsa_exception_fp_ieee_underflow 0
		.amdhsa_exception_fp_ieee_inexact 0
		.amdhsa_exception_int_div_zero 0
	.end_amdhsa_kernel
	.section	.text._ZN9rocsparseL23check_matrix_coo_deviceILj256EfllEEvT2_S1_lPKT0_PKT1_PKS1_21rocsparse_index_base_22rocsparse_matrix_type_20rocsparse_fill_mode_23rocsparse_storage_mode_P22rocsparse_data_status_,"axG",@progbits,_ZN9rocsparseL23check_matrix_coo_deviceILj256EfllEEvT2_S1_lPKT0_PKT1_PKS1_21rocsparse_index_base_22rocsparse_matrix_type_20rocsparse_fill_mode_23rocsparse_storage_mode_P22rocsparse_data_status_,comdat
.Lfunc_end4:
	.size	_ZN9rocsparseL23check_matrix_coo_deviceILj256EfllEEvT2_S1_lPKT0_PKT1_PKS1_21rocsparse_index_base_22rocsparse_matrix_type_20rocsparse_fill_mode_23rocsparse_storage_mode_P22rocsparse_data_status_, .Lfunc_end4-_ZN9rocsparseL23check_matrix_coo_deviceILj256EfllEEvT2_S1_lPKT0_PKT1_PKS1_21rocsparse_index_base_22rocsparse_matrix_type_20rocsparse_fill_mode_23rocsparse_storage_mode_P22rocsparse_data_status_
                                        ; -- End function
	.set _ZN9rocsparseL23check_matrix_coo_deviceILj256EfllEEvT2_S1_lPKT0_PKT1_PKS1_21rocsparse_index_base_22rocsparse_matrix_type_20rocsparse_fill_mode_23rocsparse_storage_mode_P22rocsparse_data_status_.num_vgpr, 13
	.set _ZN9rocsparseL23check_matrix_coo_deviceILj256EfllEEvT2_S1_lPKT0_PKT1_PKS1_21rocsparse_index_base_22rocsparse_matrix_type_20rocsparse_fill_mode_23rocsparse_storage_mode_P22rocsparse_data_status_.num_agpr, 0
	.set _ZN9rocsparseL23check_matrix_coo_deviceILj256EfllEEvT2_S1_lPKT0_PKT1_PKS1_21rocsparse_index_base_22rocsparse_matrix_type_20rocsparse_fill_mode_23rocsparse_storage_mode_P22rocsparse_data_status_.numbered_sgpr, 32
	.set _ZN9rocsparseL23check_matrix_coo_deviceILj256EfllEEvT2_S1_lPKT0_PKT1_PKS1_21rocsparse_index_base_22rocsparse_matrix_type_20rocsparse_fill_mode_23rocsparse_storage_mode_P22rocsparse_data_status_.num_named_barrier, 0
	.set _ZN9rocsparseL23check_matrix_coo_deviceILj256EfllEEvT2_S1_lPKT0_PKT1_PKS1_21rocsparse_index_base_22rocsparse_matrix_type_20rocsparse_fill_mode_23rocsparse_storage_mode_P22rocsparse_data_status_.private_seg_size, 0
	.set _ZN9rocsparseL23check_matrix_coo_deviceILj256EfllEEvT2_S1_lPKT0_PKT1_PKS1_21rocsparse_index_base_22rocsparse_matrix_type_20rocsparse_fill_mode_23rocsparse_storage_mode_P22rocsparse_data_status_.uses_vcc, 1
	.set _ZN9rocsparseL23check_matrix_coo_deviceILj256EfllEEvT2_S1_lPKT0_PKT1_PKS1_21rocsparse_index_base_22rocsparse_matrix_type_20rocsparse_fill_mode_23rocsparse_storage_mode_P22rocsparse_data_status_.uses_flat_scratch, 0
	.set _ZN9rocsparseL23check_matrix_coo_deviceILj256EfllEEvT2_S1_lPKT0_PKT1_PKS1_21rocsparse_index_base_22rocsparse_matrix_type_20rocsparse_fill_mode_23rocsparse_storage_mode_P22rocsparse_data_status_.has_dyn_sized_stack, 0
	.set _ZN9rocsparseL23check_matrix_coo_deviceILj256EfllEEvT2_S1_lPKT0_PKT1_PKS1_21rocsparse_index_base_22rocsparse_matrix_type_20rocsparse_fill_mode_23rocsparse_storage_mode_P22rocsparse_data_status_.has_recursion, 0
	.set _ZN9rocsparseL23check_matrix_coo_deviceILj256EfllEEvT2_S1_lPKT0_PKT1_PKS1_21rocsparse_index_base_22rocsparse_matrix_type_20rocsparse_fill_mode_23rocsparse_storage_mode_P22rocsparse_data_status_.has_indirect_call, 0
	.section	.AMDGPU.csdata,"",@progbits
; Kernel info:
; codeLenInByte = 680
; TotalNumSgprs: 36
; NumVgprs: 13
; ScratchSize: 0
; MemoryBound: 0
; FloatMode: 240
; IeeeMode: 1
; LDSByteSize: 0 bytes/workgroup (compile time only)
; SGPRBlocks: 4
; VGPRBlocks: 3
; NumSGPRsForWavesPerEU: 36
; NumVGPRsForWavesPerEU: 13
; Occupancy: 10
; WaveLimiterHint : 0
; COMPUTE_PGM_RSRC2:SCRATCH_EN: 0
; COMPUTE_PGM_RSRC2:USER_SGPR: 6
; COMPUTE_PGM_RSRC2:TRAP_HANDLER: 0
; COMPUTE_PGM_RSRC2:TGID_X_EN: 1
; COMPUTE_PGM_RSRC2:TGID_Y_EN: 0
; COMPUTE_PGM_RSRC2:TGID_Z_EN: 0
; COMPUTE_PGM_RSRC2:TIDIG_COMP_CNT: 0
	.section	.text._ZN9rocsparseL23check_matrix_coo_deviceILj256EdllEEvT2_S1_lPKT0_PKT1_PKS1_21rocsparse_index_base_22rocsparse_matrix_type_20rocsparse_fill_mode_23rocsparse_storage_mode_P22rocsparse_data_status_,"axG",@progbits,_ZN9rocsparseL23check_matrix_coo_deviceILj256EdllEEvT2_S1_lPKT0_PKT1_PKS1_21rocsparse_index_base_22rocsparse_matrix_type_20rocsparse_fill_mode_23rocsparse_storage_mode_P22rocsparse_data_status_,comdat
	.globl	_ZN9rocsparseL23check_matrix_coo_deviceILj256EdllEEvT2_S1_lPKT0_PKT1_PKS1_21rocsparse_index_base_22rocsparse_matrix_type_20rocsparse_fill_mode_23rocsparse_storage_mode_P22rocsparse_data_status_ ; -- Begin function _ZN9rocsparseL23check_matrix_coo_deviceILj256EdllEEvT2_S1_lPKT0_PKT1_PKS1_21rocsparse_index_base_22rocsparse_matrix_type_20rocsparse_fill_mode_23rocsparse_storage_mode_P22rocsparse_data_status_
	.p2align	8
	.type	_ZN9rocsparseL23check_matrix_coo_deviceILj256EdllEEvT2_S1_lPKT0_PKT1_PKS1_21rocsparse_index_base_22rocsparse_matrix_type_20rocsparse_fill_mode_23rocsparse_storage_mode_P22rocsparse_data_status_,@function
_ZN9rocsparseL23check_matrix_coo_deviceILj256EdllEEvT2_S1_lPKT0_PKT1_PKS1_21rocsparse_index_base_22rocsparse_matrix_type_20rocsparse_fill_mode_23rocsparse_storage_mode_P22rocsparse_data_status_: ; @_ZN9rocsparseL23check_matrix_coo_deviceILj256EdllEEvT2_S1_lPKT0_PKT1_PKS1_21rocsparse_index_base_22rocsparse_matrix_type_20rocsparse_fill_mode_23rocsparse_storage_mode_P22rocsparse_data_status_
; %bb.0:
	s_load_dwordx2 s[22:23], s[4:5], 0x10
	v_lshl_or_b32 v0, s6, 8, v0
	v_mov_b32_e32 v1, 0
	s_waitcnt lgkmcnt(0)
	v_cmp_gt_i64_e32 vcc, s[22:23], v[0:1]
	s_and_saveexec_b64 s[0:1], vcc
	s_cbranch_execz .LBB5_24
; %bb.1:
	s_load_dwordx2 s[0:1], s[4:5], 0x20
	v_lshlrev_b64 v[10:11], 3, v[0:1]
	v_mov_b32_e32 v12, 4
	s_waitcnt lgkmcnt(0)
	v_mov_b32_e32 v3, s1
	v_add_co_u32_e32 v2, vcc, s0, v10
	v_addc_co_u32_e32 v3, vcc, v3, v11, vcc
	global_load_dwordx2 v[4:5], v[2:3], off
	s_load_dwordx4 s[12:15], s[4:5], 0x30
	s_load_dwordx4 s[8:11], s[4:5], 0x0
	s_waitcnt vmcnt(0) lgkmcnt(0)
	v_subrev_co_u32_e32 v6, vcc, s12, v4
	v_subbrev_co_u32_e32 v7, vcc, 0, v5, vcc
	v_cmp_lt_i64_e32 vcc, -1, v[6:7]
	v_cmp_gt_i64_e64 s[0:1], s[8:9], v[6:7]
	s_and_b64 s[0:1], vcc, s[0:1]
	s_xor_b64 s[8:9], s[0:1], -1
	s_and_saveexec_b64 s[16:17], s[0:1]
	s_cbranch_execz .LBB5_22
; %bb.2:
	s_load_dwordx2 s[0:1], s[4:5], 0x28
	s_waitcnt lgkmcnt(0)
	v_mov_b32_e32 v6, s1
	v_add_co_u32_e32 v8, vcc, s0, v10
	v_addc_co_u32_e32 v9, vcc, v6, v11, vcc
	global_load_dwordx2 v[6:7], v[8:9], off
	s_waitcnt vmcnt(0)
	v_subrev_co_u32_e32 v12, vcc, s12, v6
	v_subbrev_co_u32_e32 v13, vcc, 0, v7, vcc
	v_cmp_lt_i64_e32 vcc, -1, v[12:13]
	v_cmp_gt_i64_e64 s[0:1], s[10:11], v[12:13]
	v_mov_b32_e32 v12, 4
	s_and_b64 s[0:1], vcc, s[0:1]
	s_xor_b64 s[18:19], s[0:1], -1
	s_and_saveexec_b64 s[20:21], s[0:1]
	s_cbranch_execz .LBB5_21
; %bb.3:
	s_load_dwordx2 s[0:1], s[4:5], 0x18
	s_mov_b32 s2, 0
	s_mov_b32 s3, 0x7ff00000
	s_waitcnt lgkmcnt(0)
	v_mov_b32_e32 v12, s1
	v_add_co_u32_e32 v10, vcc, s0, v10
	v_addc_co_u32_e32 v11, vcc, v12, v11, vcc
	global_load_dwordx2 v[10:11], v[10:11], off
	v_mov_b32_e32 v12, 1
	s_waitcnt vmcnt(0)
	v_cmp_eq_f64_e64 s[0:1], s[2:3], v[10:11]
	v_cmp_neq_f64_e32 vcc, s[2:3], v[10:11]
	s_and_saveexec_b64 s[24:25], vcc
	s_cbranch_execz .LBB5_20
; %bb.4:
	v_cmp_o_f64_e32 vcc, v[10:11], v[10:11]
	s_mov_b64 s[2:3], -1
	v_mov_b32_e32 v12, 2
	s_and_saveexec_b64 s[26:27], vcc
	s_cbranch_execz .LBB5_19
; %bb.5:
	s_cmp_lg_u32 s13, 0
	s_cbranch_scc0 .LBB5_8
; %bb.6:
	s_cmp_lg_u32 s14, 0
	s_cbranch_scc0 .LBB5_9
; %bb.7:
	v_cmp_le_i64_e32 vcc, v[4:5], v[6:7]
	s_mov_b64 s[2:3], 0
	s_mov_b64 s[28:29], -1
	s_mov_b32 s13, 7
	s_and_b64 s[6:7], vcc, exec
	s_branch .LBB5_10
.LBB5_8:
	s_mov_b64 s[6:7], -1
	s_mov_b64 s[28:29], 0
	s_mov_b32 s13, 2
	s_branch .LBB5_12
.LBB5_9:
	s_mov_b64 s[6:7], 0
	s_mov_b32 s13, 2
	s_mov_b64 s[28:29], 0
.LBB5_10:
	s_andn2_b64 vcc, exec, s[2:3]
	s_cbranch_vccnz .LBB5_12
; %bb.11:
	v_cmp_lt_i64_e32 vcc, v[4:5], v[6:7]
	v_cmp_ge_i64_e64 s[2:3], v[4:5], v[6:7]
	s_andn2_b64 s[28:29], s[28:29], exec
	s_and_b64 s[30:31], vcc, exec
	s_andn2_b64 s[6:7], s[6:7], exec
	s_and_b64 s[2:3], s[2:3], exec
	s_mov_b32 s13, 7
	s_or_b64 s[28:29], s[28:29], s[30:31]
	s_or_b64 s[6:7], s[6:7], s[2:3]
.LBB5_12:
	v_mov_b32_e32 v12, s13
	s_and_saveexec_b64 s[30:31], s[6:7]
	s_cbranch_execz .LBB5_18
; %bb.13:
	s_cmp_eq_u32 s15, 0
	s_cselect_b64 s[2:3], -1, 0
	s_add_u32 s6, s22, -1
	s_addc_u32 s7, s23, -1
	v_cmp_gt_u64_e32 vcc, s[6:7], v[0:1]
	v_mov_b32_e32 v12, s13
	s_and_b64 s[6:7], s[2:3], vcc
	s_mov_b64 s[2:3], 0
	s_and_saveexec_b64 s[14:15], s[6:7]
	s_cbranch_execz .LBB5_17
; %bb.14:
	global_load_dwordx2 v[0:1], v[2:3], off offset:8
	v_mov_b32_e32 v12, s13
	s_waitcnt vmcnt(0)
	v_cmp_eq_u64_e32 vcc, v[4:5], v[0:1]
	s_and_saveexec_b64 s[22:23], vcc
	s_cbranch_execz .LBB5_16
; %bb.15:
	global_load_dwordx2 v[0:1], v[8:9], off offset:8
	v_mov_b32_e32 v12, 6
	s_waitcnt vmcnt(0)
	v_subrev_co_u32_e32 v2, vcc, s12, v0
	v_subbrev_co_u32_e32 v3, vcc, 0, v1, vcc
	v_cmp_lt_i64_e32 vcc, -1, v[2:3]
	v_cmp_gt_i64_e64 s[2:3], s[10:11], v[2:3]
	v_cmp_gt_i64_e64 s[6:7], v[6:7], v[0:1]
	s_and_b64 s[2:3], vcc, s[2:3]
	s_and_b64 s[2:3], s[6:7], s[2:3]
	s_and_b64 s[2:3], s[2:3], exec
.LBB5_16:
	s_or_b64 exec, exec, s[22:23]
	s_and_b64 s[2:3], s[2:3], exec
.LBB5_17:
	s_or_b64 exec, exec, s[14:15]
	s_andn2_b64 s[6:7], s[28:29], exec
	s_and_b64 s[2:3], s[2:3], exec
	s_or_b64 s[28:29], s[6:7], s[2:3]
.LBB5_18:
	s_or_b64 exec, exec, s[30:31]
	s_orn2_b64 s[2:3], s[28:29], exec
.LBB5_19:
	s_or_b64 exec, exec, s[26:27]
	s_andn2_b64 s[0:1], s[0:1], exec
	s_and_b64 s[2:3], s[2:3], exec
	s_or_b64 s[0:1], s[0:1], s[2:3]
.LBB5_20:
	s_or_b64 exec, exec, s[24:25]
	s_andn2_b64 s[2:3], s[18:19], exec
	s_and_b64 s[0:1], s[0:1], exec
	s_or_b64 s[18:19], s[2:3], s[0:1]
.LBB5_21:
	s_or_b64 exec, exec, s[20:21]
	s_andn2_b64 s[0:1], s[8:9], exec
	s_and_b64 s[2:3], s[18:19], exec
	s_or_b64 s[8:9], s[0:1], s[2:3]
.LBB5_22:
	s_or_b64 exec, exec, s[16:17]
	s_and_b64 exec, exec, s[8:9]
	s_cbranch_execz .LBB5_24
; %bb.23:
	s_load_dwordx2 s[0:1], s[4:5], 0x40
	v_mov_b32_e32 v0, 0
	s_waitcnt lgkmcnt(0)
	global_store_dword v0, v12, s[0:1]
.LBB5_24:
	s_endpgm
	.section	.rodata,"a",@progbits
	.p2align	6, 0x0
	.amdhsa_kernel _ZN9rocsparseL23check_matrix_coo_deviceILj256EdllEEvT2_S1_lPKT0_PKT1_PKS1_21rocsparse_index_base_22rocsparse_matrix_type_20rocsparse_fill_mode_23rocsparse_storage_mode_P22rocsparse_data_status_
		.amdhsa_group_segment_fixed_size 0
		.amdhsa_private_segment_fixed_size 0
		.amdhsa_kernarg_size 72
		.amdhsa_user_sgpr_count 6
		.amdhsa_user_sgpr_private_segment_buffer 1
		.amdhsa_user_sgpr_dispatch_ptr 0
		.amdhsa_user_sgpr_queue_ptr 0
		.amdhsa_user_sgpr_kernarg_segment_ptr 1
		.amdhsa_user_sgpr_dispatch_id 0
		.amdhsa_user_sgpr_flat_scratch_init 0
		.amdhsa_user_sgpr_private_segment_size 0
		.amdhsa_uses_dynamic_stack 0
		.amdhsa_system_sgpr_private_segment_wavefront_offset 0
		.amdhsa_system_sgpr_workgroup_id_x 1
		.amdhsa_system_sgpr_workgroup_id_y 0
		.amdhsa_system_sgpr_workgroup_id_z 0
		.amdhsa_system_sgpr_workgroup_info 0
		.amdhsa_system_vgpr_workitem_id 0
		.amdhsa_next_free_vgpr 14
		.amdhsa_next_free_sgpr 32
		.amdhsa_reserve_vcc 1
		.amdhsa_reserve_flat_scratch 0
		.amdhsa_float_round_mode_32 0
		.amdhsa_float_round_mode_16_64 0
		.amdhsa_float_denorm_mode_32 3
		.amdhsa_float_denorm_mode_16_64 3
		.amdhsa_dx10_clamp 1
		.amdhsa_ieee_mode 1
		.amdhsa_fp16_overflow 0
		.amdhsa_exception_fp_ieee_invalid_op 0
		.amdhsa_exception_fp_denorm_src 0
		.amdhsa_exception_fp_ieee_div_zero 0
		.amdhsa_exception_fp_ieee_overflow 0
		.amdhsa_exception_fp_ieee_underflow 0
		.amdhsa_exception_fp_ieee_inexact 0
		.amdhsa_exception_int_div_zero 0
	.end_amdhsa_kernel
	.section	.text._ZN9rocsparseL23check_matrix_coo_deviceILj256EdllEEvT2_S1_lPKT0_PKT1_PKS1_21rocsparse_index_base_22rocsparse_matrix_type_20rocsparse_fill_mode_23rocsparse_storage_mode_P22rocsparse_data_status_,"axG",@progbits,_ZN9rocsparseL23check_matrix_coo_deviceILj256EdllEEvT2_S1_lPKT0_PKT1_PKS1_21rocsparse_index_base_22rocsparse_matrix_type_20rocsparse_fill_mode_23rocsparse_storage_mode_P22rocsparse_data_status_,comdat
.Lfunc_end5:
	.size	_ZN9rocsparseL23check_matrix_coo_deviceILj256EdllEEvT2_S1_lPKT0_PKT1_PKS1_21rocsparse_index_base_22rocsparse_matrix_type_20rocsparse_fill_mode_23rocsparse_storage_mode_P22rocsparse_data_status_, .Lfunc_end5-_ZN9rocsparseL23check_matrix_coo_deviceILj256EdllEEvT2_S1_lPKT0_PKT1_PKS1_21rocsparse_index_base_22rocsparse_matrix_type_20rocsparse_fill_mode_23rocsparse_storage_mode_P22rocsparse_data_status_
                                        ; -- End function
	.set _ZN9rocsparseL23check_matrix_coo_deviceILj256EdllEEvT2_S1_lPKT0_PKT1_PKS1_21rocsparse_index_base_22rocsparse_matrix_type_20rocsparse_fill_mode_23rocsparse_storage_mode_P22rocsparse_data_status_.num_vgpr, 14
	.set _ZN9rocsparseL23check_matrix_coo_deviceILj256EdllEEvT2_S1_lPKT0_PKT1_PKS1_21rocsparse_index_base_22rocsparse_matrix_type_20rocsparse_fill_mode_23rocsparse_storage_mode_P22rocsparse_data_status_.num_agpr, 0
	.set _ZN9rocsparseL23check_matrix_coo_deviceILj256EdllEEvT2_S1_lPKT0_PKT1_PKS1_21rocsparse_index_base_22rocsparse_matrix_type_20rocsparse_fill_mode_23rocsparse_storage_mode_P22rocsparse_data_status_.numbered_sgpr, 32
	.set _ZN9rocsparseL23check_matrix_coo_deviceILj256EdllEEvT2_S1_lPKT0_PKT1_PKS1_21rocsparse_index_base_22rocsparse_matrix_type_20rocsparse_fill_mode_23rocsparse_storage_mode_P22rocsparse_data_status_.num_named_barrier, 0
	.set _ZN9rocsparseL23check_matrix_coo_deviceILj256EdllEEvT2_S1_lPKT0_PKT1_PKS1_21rocsparse_index_base_22rocsparse_matrix_type_20rocsparse_fill_mode_23rocsparse_storage_mode_P22rocsparse_data_status_.private_seg_size, 0
	.set _ZN9rocsparseL23check_matrix_coo_deviceILj256EdllEEvT2_S1_lPKT0_PKT1_PKS1_21rocsparse_index_base_22rocsparse_matrix_type_20rocsparse_fill_mode_23rocsparse_storage_mode_P22rocsparse_data_status_.uses_vcc, 1
	.set _ZN9rocsparseL23check_matrix_coo_deviceILj256EdllEEvT2_S1_lPKT0_PKT1_PKS1_21rocsparse_index_base_22rocsparse_matrix_type_20rocsparse_fill_mode_23rocsparse_storage_mode_P22rocsparse_data_status_.uses_flat_scratch, 0
	.set _ZN9rocsparseL23check_matrix_coo_deviceILj256EdllEEvT2_S1_lPKT0_PKT1_PKS1_21rocsparse_index_base_22rocsparse_matrix_type_20rocsparse_fill_mode_23rocsparse_storage_mode_P22rocsparse_data_status_.has_dyn_sized_stack, 0
	.set _ZN9rocsparseL23check_matrix_coo_deviceILj256EdllEEvT2_S1_lPKT0_PKT1_PKS1_21rocsparse_index_base_22rocsparse_matrix_type_20rocsparse_fill_mode_23rocsparse_storage_mode_P22rocsparse_data_status_.has_recursion, 0
	.set _ZN9rocsparseL23check_matrix_coo_deviceILj256EdllEEvT2_S1_lPKT0_PKT1_PKS1_21rocsparse_index_base_22rocsparse_matrix_type_20rocsparse_fill_mode_23rocsparse_storage_mode_P22rocsparse_data_status_.has_indirect_call, 0
	.section	.AMDGPU.csdata,"",@progbits
; Kernel info:
; codeLenInByte = 676
; TotalNumSgprs: 36
; NumVgprs: 14
; ScratchSize: 0
; MemoryBound: 0
; FloatMode: 240
; IeeeMode: 1
; LDSByteSize: 0 bytes/workgroup (compile time only)
; SGPRBlocks: 4
; VGPRBlocks: 3
; NumSGPRsForWavesPerEU: 36
; NumVGPRsForWavesPerEU: 14
; Occupancy: 10
; WaveLimiterHint : 0
; COMPUTE_PGM_RSRC2:SCRATCH_EN: 0
; COMPUTE_PGM_RSRC2:USER_SGPR: 6
; COMPUTE_PGM_RSRC2:TRAP_HANDLER: 0
; COMPUTE_PGM_RSRC2:TGID_X_EN: 1
; COMPUTE_PGM_RSRC2:TGID_Y_EN: 0
; COMPUTE_PGM_RSRC2:TGID_Z_EN: 0
; COMPUTE_PGM_RSRC2:TIDIG_COMP_CNT: 0
	.section	.text._ZN9rocsparseL23check_matrix_coo_deviceILj256E21rocsparse_complex_numIfEllEEvT2_S3_lPKT0_PKT1_PKS3_21rocsparse_index_base_22rocsparse_matrix_type_20rocsparse_fill_mode_23rocsparse_storage_mode_P22rocsparse_data_status_,"axG",@progbits,_ZN9rocsparseL23check_matrix_coo_deviceILj256E21rocsparse_complex_numIfEllEEvT2_S3_lPKT0_PKT1_PKS3_21rocsparse_index_base_22rocsparse_matrix_type_20rocsparse_fill_mode_23rocsparse_storage_mode_P22rocsparse_data_status_,comdat
	.globl	_ZN9rocsparseL23check_matrix_coo_deviceILj256E21rocsparse_complex_numIfEllEEvT2_S3_lPKT0_PKT1_PKS3_21rocsparse_index_base_22rocsparse_matrix_type_20rocsparse_fill_mode_23rocsparse_storage_mode_P22rocsparse_data_status_ ; -- Begin function _ZN9rocsparseL23check_matrix_coo_deviceILj256E21rocsparse_complex_numIfEllEEvT2_S3_lPKT0_PKT1_PKS3_21rocsparse_index_base_22rocsparse_matrix_type_20rocsparse_fill_mode_23rocsparse_storage_mode_P22rocsparse_data_status_
	.p2align	8
	.type	_ZN9rocsparseL23check_matrix_coo_deviceILj256E21rocsparse_complex_numIfEllEEvT2_S3_lPKT0_PKT1_PKS3_21rocsparse_index_base_22rocsparse_matrix_type_20rocsparse_fill_mode_23rocsparse_storage_mode_P22rocsparse_data_status_,@function
_ZN9rocsparseL23check_matrix_coo_deviceILj256E21rocsparse_complex_numIfEllEEvT2_S3_lPKT0_PKT1_PKS3_21rocsparse_index_base_22rocsparse_matrix_type_20rocsparse_fill_mode_23rocsparse_storage_mode_P22rocsparse_data_status_: ; @_ZN9rocsparseL23check_matrix_coo_deviceILj256E21rocsparse_complex_numIfEllEEvT2_S3_lPKT0_PKT1_PKS3_21rocsparse_index_base_22rocsparse_matrix_type_20rocsparse_fill_mode_23rocsparse_storage_mode_P22rocsparse_data_status_
; %bb.0:
	s_load_dwordx2 s[18:19], s[4:5], 0x10
	v_lshl_or_b32 v0, s6, 8, v0
	v_mov_b32_e32 v1, 0
	s_waitcnt lgkmcnt(0)
	v_cmp_gt_i64_e32 vcc, s[18:19], v[0:1]
	s_and_saveexec_b64 s[0:1], vcc
	s_cbranch_execz .LBB6_24
; %bb.1:
	s_load_dwordx2 s[0:1], s[4:5], 0x20
	v_lshlrev_b64 v[10:11], 3, v[0:1]
	v_mov_b32_e32 v12, 4
	s_waitcnt lgkmcnt(0)
	v_mov_b32_e32 v3, s1
	v_add_co_u32_e32 v2, vcc, s0, v10
	v_addc_co_u32_e32 v3, vcc, v3, v11, vcc
	global_load_dwordx2 v[4:5], v[2:3], off
	s_load_dwordx4 s[8:11], s[4:5], 0x30
	s_load_dwordx4 s[0:3], s[4:5], 0x0
	s_waitcnt vmcnt(0) lgkmcnt(0)
	v_subrev_co_u32_e32 v6, vcc, s8, v4
	v_subbrev_co_u32_e32 v7, vcc, 0, v5, vcc
	v_cmp_lt_i64_e32 vcc, -1, v[6:7]
	v_cmp_gt_i64_e64 s[0:1], s[0:1], v[6:7]
	s_and_b64 s[0:1], vcc, s[0:1]
	s_xor_b64 s[6:7], s[0:1], -1
	s_and_saveexec_b64 s[12:13], s[0:1]
	s_cbranch_execz .LBB6_22
; %bb.2:
	s_load_dwordx2 s[0:1], s[4:5], 0x28
	s_waitcnt lgkmcnt(0)
	v_mov_b32_e32 v6, s1
	v_add_co_u32_e32 v8, vcc, s0, v10
	v_addc_co_u32_e32 v9, vcc, v6, v11, vcc
	global_load_dwordx2 v[6:7], v[8:9], off
	s_waitcnt vmcnt(0)
	v_subrev_co_u32_e32 v12, vcc, s8, v6
	v_subbrev_co_u32_e32 v13, vcc, 0, v7, vcc
	v_cmp_lt_i64_e32 vcc, -1, v[12:13]
	v_cmp_gt_i64_e64 s[0:1], s[2:3], v[12:13]
	v_mov_b32_e32 v12, 4
	s_and_b64 s[0:1], vcc, s[0:1]
	s_xor_b64 s[14:15], s[0:1], -1
	s_and_saveexec_b64 s[16:17], s[0:1]
	s_cbranch_execz .LBB6_21
; %bb.3:
	s_load_dwordx2 s[0:1], s[4:5], 0x18
	s_mov_b64 s[26:27], -1
	s_waitcnt lgkmcnt(0)
	v_mov_b32_e32 v12, s1
	v_add_co_u32_e32 v10, vcc, s0, v10
	v_addc_co_u32_e32 v11, vcc, v12, v11, vcc
	global_load_dwordx2 v[10:11], v[10:11], off
	s_mov_b32 s0, 0x7f800000
	v_mov_b32_e32 v12, 1
	s_waitcnt vmcnt(0)
	v_cmp_eq_f32_e32 vcc, s0, v10
	v_cmp_eq_f32_e64 s[0:1], s0, v11
	s_or_b64 s[20:21], vcc, s[0:1]
	s_xor_b64 s[0:1], s[20:21], -1
	s_and_saveexec_b64 s[22:23], s[0:1]
	s_cbranch_execz .LBB6_20
; %bb.4:
	v_cmp_o_f32_e32 vcc, v10, v11
	v_mov_b32_e32 v12, 2
	s_and_saveexec_b64 s[24:25], vcc
	s_cbranch_execz .LBB6_19
; %bb.5:
	s_cmp_lg_u32 s9, 0
	s_cbranch_scc0 .LBB6_8
; %bb.6:
	s_cmp_lg_u32 s10, 0
	s_cbranch_scc0 .LBB6_9
; %bb.7:
	v_cmp_le_i64_e32 vcc, v[4:5], v[6:7]
	s_mov_b64 s[0:1], 0
	s_mov_b32 s9, 7
	s_and_b64 s[30:31], vcc, exec
	s_branch .LBB6_10
.LBB6_8:
	s_mov_b64 s[30:31], -1
	s_mov_b64 s[26:27], 0
	s_mov_b32 s9, 2
	s_branch .LBB6_12
.LBB6_9:
	s_mov_b64 s[0:1], -1
	s_mov_b64 s[30:31], 0
	s_mov_b32 s9, 2
	s_mov_b64 s[26:27], 0
.LBB6_10:
	s_andn2_b64 vcc, exec, s[0:1]
	s_cbranch_vccnz .LBB6_12
; %bb.11:
	v_cmp_lt_i64_e32 vcc, v[4:5], v[6:7]
	v_cmp_ge_i64_e64 s[0:1], v[4:5], v[6:7]
	s_andn2_b64 s[26:27], s[26:27], exec
	s_and_b64 s[28:29], vcc, exec
	s_or_b64 s[26:27], s[26:27], s[28:29]
	s_andn2_b64 s[28:29], s[30:31], exec
	s_and_b64 s[0:1], s[0:1], exec
	s_mov_b32 s9, 7
	s_or_b64 s[30:31], s[28:29], s[0:1]
.LBB6_12:
	v_mov_b32_e32 v12, s9
	s_and_saveexec_b64 s[28:29], s[30:31]
	s_cbranch_execz .LBB6_18
; %bb.13:
	s_cmp_eq_u32 s11, 0
	s_cselect_b64 s[0:1], -1, 0
	s_add_u32 s10, s18, -1
	s_addc_u32 s11, s19, -1
	v_cmp_gt_u64_e32 vcc, s[10:11], v[0:1]
	v_mov_b32_e32 v12, s9
	s_and_b64 s[18:19], s[0:1], vcc
	s_mov_b64 s[0:1], 0
	s_and_saveexec_b64 s[10:11], s[18:19]
	s_cbranch_execz .LBB6_17
; %bb.14:
	global_load_dwordx2 v[0:1], v[2:3], off offset:8
	v_mov_b32_e32 v12, s9
	s_waitcnt vmcnt(0)
	v_cmp_eq_u64_e32 vcc, v[4:5], v[0:1]
	s_and_saveexec_b64 s[18:19], vcc
	s_cbranch_execz .LBB6_16
; %bb.15:
	global_load_dwordx2 v[0:1], v[8:9], off offset:8
	v_mov_b32_e32 v12, 6
	s_waitcnt vmcnt(0)
	v_subrev_co_u32_e32 v2, vcc, s8, v0
	v_subbrev_co_u32_e32 v3, vcc, 0, v1, vcc
	v_cmp_lt_i64_e32 vcc, -1, v[2:3]
	v_cmp_gt_i64_e64 s[0:1], s[2:3], v[2:3]
	v_cmp_gt_i64_e64 s[2:3], v[6:7], v[0:1]
	s_and_b64 s[0:1], vcc, s[0:1]
	s_and_b64 s[0:1], s[2:3], s[0:1]
	s_and_b64 s[0:1], s[0:1], exec
.LBB6_16:
	s_or_b64 exec, exec, s[18:19]
	s_and_b64 s[0:1], s[0:1], exec
.LBB6_17:
	s_or_b64 exec, exec, s[10:11]
	s_andn2_b64 s[2:3], s[26:27], exec
	s_and_b64 s[0:1], s[0:1], exec
	s_or_b64 s[26:27], s[2:3], s[0:1]
.LBB6_18:
	s_or_b64 exec, exec, s[28:29]
	s_orn2_b64 s[26:27], s[26:27], exec
.LBB6_19:
	s_or_b64 exec, exec, s[24:25]
	s_andn2_b64 s[0:1], s[20:21], exec
	s_and_b64 s[2:3], s[26:27], exec
	s_or_b64 s[20:21], s[0:1], s[2:3]
.LBB6_20:
	s_or_b64 exec, exec, s[22:23]
	s_andn2_b64 s[0:1], s[14:15], exec
	s_and_b64 s[2:3], s[20:21], exec
	s_or_b64 s[14:15], s[0:1], s[2:3]
.LBB6_21:
	s_or_b64 exec, exec, s[16:17]
	s_andn2_b64 s[0:1], s[6:7], exec
	s_and_b64 s[2:3], s[14:15], exec
	s_or_b64 s[6:7], s[0:1], s[2:3]
.LBB6_22:
	s_or_b64 exec, exec, s[12:13]
	s_and_b64 exec, exec, s[6:7]
	s_cbranch_execz .LBB6_24
; %bb.23:
	s_load_dwordx2 s[0:1], s[4:5], 0x40
	v_mov_b32_e32 v0, 0
	s_waitcnt lgkmcnt(0)
	global_store_dword v0, v12, s[0:1]
.LBB6_24:
	s_endpgm
	.section	.rodata,"a",@progbits
	.p2align	6, 0x0
	.amdhsa_kernel _ZN9rocsparseL23check_matrix_coo_deviceILj256E21rocsparse_complex_numIfEllEEvT2_S3_lPKT0_PKT1_PKS3_21rocsparse_index_base_22rocsparse_matrix_type_20rocsparse_fill_mode_23rocsparse_storage_mode_P22rocsparse_data_status_
		.amdhsa_group_segment_fixed_size 0
		.amdhsa_private_segment_fixed_size 0
		.amdhsa_kernarg_size 72
		.amdhsa_user_sgpr_count 6
		.amdhsa_user_sgpr_private_segment_buffer 1
		.amdhsa_user_sgpr_dispatch_ptr 0
		.amdhsa_user_sgpr_queue_ptr 0
		.amdhsa_user_sgpr_kernarg_segment_ptr 1
		.amdhsa_user_sgpr_dispatch_id 0
		.amdhsa_user_sgpr_flat_scratch_init 0
		.amdhsa_user_sgpr_private_segment_size 0
		.amdhsa_uses_dynamic_stack 0
		.amdhsa_system_sgpr_private_segment_wavefront_offset 0
		.amdhsa_system_sgpr_workgroup_id_x 1
		.amdhsa_system_sgpr_workgroup_id_y 0
		.amdhsa_system_sgpr_workgroup_id_z 0
		.amdhsa_system_sgpr_workgroup_info 0
		.amdhsa_system_vgpr_workitem_id 0
		.amdhsa_next_free_vgpr 14
		.amdhsa_next_free_sgpr 32
		.amdhsa_reserve_vcc 1
		.amdhsa_reserve_flat_scratch 0
		.amdhsa_float_round_mode_32 0
		.amdhsa_float_round_mode_16_64 0
		.amdhsa_float_denorm_mode_32 3
		.amdhsa_float_denorm_mode_16_64 3
		.amdhsa_dx10_clamp 1
		.amdhsa_ieee_mode 1
		.amdhsa_fp16_overflow 0
		.amdhsa_exception_fp_ieee_invalid_op 0
		.amdhsa_exception_fp_denorm_src 0
		.amdhsa_exception_fp_ieee_div_zero 0
		.amdhsa_exception_fp_ieee_overflow 0
		.amdhsa_exception_fp_ieee_underflow 0
		.amdhsa_exception_fp_ieee_inexact 0
		.amdhsa_exception_int_div_zero 0
	.end_amdhsa_kernel
	.section	.text._ZN9rocsparseL23check_matrix_coo_deviceILj256E21rocsparse_complex_numIfEllEEvT2_S3_lPKT0_PKT1_PKS3_21rocsparse_index_base_22rocsparse_matrix_type_20rocsparse_fill_mode_23rocsparse_storage_mode_P22rocsparse_data_status_,"axG",@progbits,_ZN9rocsparseL23check_matrix_coo_deviceILj256E21rocsparse_complex_numIfEllEEvT2_S3_lPKT0_PKT1_PKS3_21rocsparse_index_base_22rocsparse_matrix_type_20rocsparse_fill_mode_23rocsparse_storage_mode_P22rocsparse_data_status_,comdat
.Lfunc_end6:
	.size	_ZN9rocsparseL23check_matrix_coo_deviceILj256E21rocsparse_complex_numIfEllEEvT2_S3_lPKT0_PKT1_PKS3_21rocsparse_index_base_22rocsparse_matrix_type_20rocsparse_fill_mode_23rocsparse_storage_mode_P22rocsparse_data_status_, .Lfunc_end6-_ZN9rocsparseL23check_matrix_coo_deviceILj256E21rocsparse_complex_numIfEllEEvT2_S3_lPKT0_PKT1_PKS3_21rocsparse_index_base_22rocsparse_matrix_type_20rocsparse_fill_mode_23rocsparse_storage_mode_P22rocsparse_data_status_
                                        ; -- End function
	.set _ZN9rocsparseL23check_matrix_coo_deviceILj256E21rocsparse_complex_numIfEllEEvT2_S3_lPKT0_PKT1_PKS3_21rocsparse_index_base_22rocsparse_matrix_type_20rocsparse_fill_mode_23rocsparse_storage_mode_P22rocsparse_data_status_.num_vgpr, 14
	.set _ZN9rocsparseL23check_matrix_coo_deviceILj256E21rocsparse_complex_numIfEllEEvT2_S3_lPKT0_PKT1_PKS3_21rocsparse_index_base_22rocsparse_matrix_type_20rocsparse_fill_mode_23rocsparse_storage_mode_P22rocsparse_data_status_.num_agpr, 0
	.set _ZN9rocsparseL23check_matrix_coo_deviceILj256E21rocsparse_complex_numIfEllEEvT2_S3_lPKT0_PKT1_PKS3_21rocsparse_index_base_22rocsparse_matrix_type_20rocsparse_fill_mode_23rocsparse_storage_mode_P22rocsparse_data_status_.numbered_sgpr, 32
	.set _ZN9rocsparseL23check_matrix_coo_deviceILj256E21rocsparse_complex_numIfEllEEvT2_S3_lPKT0_PKT1_PKS3_21rocsparse_index_base_22rocsparse_matrix_type_20rocsparse_fill_mode_23rocsparse_storage_mode_P22rocsparse_data_status_.num_named_barrier, 0
	.set _ZN9rocsparseL23check_matrix_coo_deviceILj256E21rocsparse_complex_numIfEllEEvT2_S3_lPKT0_PKT1_PKS3_21rocsparse_index_base_22rocsparse_matrix_type_20rocsparse_fill_mode_23rocsparse_storage_mode_P22rocsparse_data_status_.private_seg_size, 0
	.set _ZN9rocsparseL23check_matrix_coo_deviceILj256E21rocsparse_complex_numIfEllEEvT2_S3_lPKT0_PKT1_PKS3_21rocsparse_index_base_22rocsparse_matrix_type_20rocsparse_fill_mode_23rocsparse_storage_mode_P22rocsparse_data_status_.uses_vcc, 1
	.set _ZN9rocsparseL23check_matrix_coo_deviceILj256E21rocsparse_complex_numIfEllEEvT2_S3_lPKT0_PKT1_PKS3_21rocsparse_index_base_22rocsparse_matrix_type_20rocsparse_fill_mode_23rocsparse_storage_mode_P22rocsparse_data_status_.uses_flat_scratch, 0
	.set _ZN9rocsparseL23check_matrix_coo_deviceILj256E21rocsparse_complex_numIfEllEEvT2_S3_lPKT0_PKT1_PKS3_21rocsparse_index_base_22rocsparse_matrix_type_20rocsparse_fill_mode_23rocsparse_storage_mode_P22rocsparse_data_status_.has_dyn_sized_stack, 0
	.set _ZN9rocsparseL23check_matrix_coo_deviceILj256E21rocsparse_complex_numIfEllEEvT2_S3_lPKT0_PKT1_PKS3_21rocsparse_index_base_22rocsparse_matrix_type_20rocsparse_fill_mode_23rocsparse_storage_mode_P22rocsparse_data_status_.has_recursion, 0
	.set _ZN9rocsparseL23check_matrix_coo_deviceILj256E21rocsparse_complex_numIfEllEEvT2_S3_lPKT0_PKT1_PKS3_21rocsparse_index_base_22rocsparse_matrix_type_20rocsparse_fill_mode_23rocsparse_storage_mode_P22rocsparse_data_status_.has_indirect_call, 0
	.section	.AMDGPU.csdata,"",@progbits
; Kernel info:
; codeLenInByte = 680
; TotalNumSgprs: 36
; NumVgprs: 14
; ScratchSize: 0
; MemoryBound: 0
; FloatMode: 240
; IeeeMode: 1
; LDSByteSize: 0 bytes/workgroup (compile time only)
; SGPRBlocks: 4
; VGPRBlocks: 3
; NumSGPRsForWavesPerEU: 36
; NumVGPRsForWavesPerEU: 14
; Occupancy: 10
; WaveLimiterHint : 0
; COMPUTE_PGM_RSRC2:SCRATCH_EN: 0
; COMPUTE_PGM_RSRC2:USER_SGPR: 6
; COMPUTE_PGM_RSRC2:TRAP_HANDLER: 0
; COMPUTE_PGM_RSRC2:TGID_X_EN: 1
; COMPUTE_PGM_RSRC2:TGID_Y_EN: 0
; COMPUTE_PGM_RSRC2:TGID_Z_EN: 0
; COMPUTE_PGM_RSRC2:TIDIG_COMP_CNT: 0
	.section	.text._ZN9rocsparseL23check_matrix_coo_deviceILj256E21rocsparse_complex_numIdEllEEvT2_S3_lPKT0_PKT1_PKS3_21rocsparse_index_base_22rocsparse_matrix_type_20rocsparse_fill_mode_23rocsparse_storage_mode_P22rocsparse_data_status_,"axG",@progbits,_ZN9rocsparseL23check_matrix_coo_deviceILj256E21rocsparse_complex_numIdEllEEvT2_S3_lPKT0_PKT1_PKS3_21rocsparse_index_base_22rocsparse_matrix_type_20rocsparse_fill_mode_23rocsparse_storage_mode_P22rocsparse_data_status_,comdat
	.globl	_ZN9rocsparseL23check_matrix_coo_deviceILj256E21rocsparse_complex_numIdEllEEvT2_S3_lPKT0_PKT1_PKS3_21rocsparse_index_base_22rocsparse_matrix_type_20rocsparse_fill_mode_23rocsparse_storage_mode_P22rocsparse_data_status_ ; -- Begin function _ZN9rocsparseL23check_matrix_coo_deviceILj256E21rocsparse_complex_numIdEllEEvT2_S3_lPKT0_PKT1_PKS3_21rocsparse_index_base_22rocsparse_matrix_type_20rocsparse_fill_mode_23rocsparse_storage_mode_P22rocsparse_data_status_
	.p2align	8
	.type	_ZN9rocsparseL23check_matrix_coo_deviceILj256E21rocsparse_complex_numIdEllEEvT2_S3_lPKT0_PKT1_PKS3_21rocsparse_index_base_22rocsparse_matrix_type_20rocsparse_fill_mode_23rocsparse_storage_mode_P22rocsparse_data_status_,@function
_ZN9rocsparseL23check_matrix_coo_deviceILj256E21rocsparse_complex_numIdEllEEvT2_S3_lPKT0_PKT1_PKS3_21rocsparse_index_base_22rocsparse_matrix_type_20rocsparse_fill_mode_23rocsparse_storage_mode_P22rocsparse_data_status_: ; @_ZN9rocsparseL23check_matrix_coo_deviceILj256E21rocsparse_complex_numIdEllEEvT2_S3_lPKT0_PKT1_PKS3_21rocsparse_index_base_22rocsparse_matrix_type_20rocsparse_fill_mode_23rocsparse_storage_mode_P22rocsparse_data_status_
; %bb.0:
	s_load_dwordx2 s[18:19], s[4:5], 0x10
	v_lshl_or_b32 v4, s6, 8, v0
	v_mov_b32_e32 v5, 0
	s_waitcnt lgkmcnt(0)
	v_cmp_gt_i64_e32 vcc, s[18:19], v[4:5]
	s_and_saveexec_b64 s[0:1], vcc
	s_cbranch_execz .LBB7_24
; %bb.1:
	s_load_dwordx2 s[0:1], s[4:5], 0x20
	v_lshlrev_b64 v[0:1], 3, v[4:5]
	v_mov_b32_e32 v14, 4
	s_waitcnt lgkmcnt(0)
	v_mov_b32_e32 v2, s1
	v_add_co_u32_e32 v6, vcc, s0, v0
	v_addc_co_u32_e32 v7, vcc, v2, v1, vcc
	global_load_dwordx2 v[8:9], v[6:7], off
	s_load_dwordx4 s[8:11], s[4:5], 0x30
	s_load_dwordx4 s[0:3], s[4:5], 0x0
	s_waitcnt vmcnt(0) lgkmcnt(0)
	v_subrev_co_u32_e32 v2, vcc, s8, v8
	v_subbrev_co_u32_e32 v3, vcc, 0, v9, vcc
	v_cmp_lt_i64_e32 vcc, -1, v[2:3]
	v_cmp_gt_i64_e64 s[0:1], s[0:1], v[2:3]
	s_and_b64 s[0:1], vcc, s[0:1]
	s_xor_b64 s[6:7], s[0:1], -1
	s_and_saveexec_b64 s[12:13], s[0:1]
	s_cbranch_execz .LBB7_22
; %bb.2:
	s_load_dwordx2 s[0:1], s[4:5], 0x28
	v_mov_b32_e32 v14, 4
	s_waitcnt lgkmcnt(0)
	v_mov_b32_e32 v2, s1
	v_add_co_u32_e32 v12, vcc, s0, v0
	v_addc_co_u32_e32 v13, vcc, v2, v1, vcc
	global_load_dwordx2 v[10:11], v[12:13], off
	s_waitcnt vmcnt(0)
	v_subrev_co_u32_e32 v0, vcc, s8, v10
	v_subbrev_co_u32_e32 v1, vcc, 0, v11, vcc
	v_cmp_lt_i64_e32 vcc, -1, v[0:1]
	v_cmp_gt_i64_e64 s[0:1], s[2:3], v[0:1]
	s_and_b64 s[0:1], vcc, s[0:1]
	s_xor_b64 s[14:15], s[0:1], -1
	s_and_saveexec_b64 s[16:17], s[0:1]
	s_cbranch_execz .LBB7_21
; %bb.3:
	s_load_dwordx2 s[0:1], s[4:5], 0x18
	v_lshlrev_b64 v[0:1], 4, v[4:5]
	s_mov_b64 s[26:27], -1
	v_mov_b32_e32 v14, 1
	s_waitcnt lgkmcnt(0)
	v_mov_b32_e32 v2, s1
	v_add_co_u32_e32 v0, vcc, s0, v0
	v_addc_co_u32_e32 v1, vcc, v2, v1, vcc
	global_load_dwordx4 v[0:3], v[0:1], off
	s_mov_b32 s0, 0
	s_mov_b32 s1, 0x7ff00000
	s_waitcnt vmcnt(0)
	v_cmp_eq_f64_e32 vcc, s[0:1], v[0:1]
	v_cmp_eq_f64_e64 s[0:1], s[0:1], v[2:3]
	s_or_b64 s[20:21], vcc, s[0:1]
	s_xor_b64 s[0:1], s[20:21], -1
	s_and_saveexec_b64 s[22:23], s[0:1]
	s_cbranch_execz .LBB7_20
; %bb.4:
	v_cmp_o_f64_e32 vcc, v[0:1], v[2:3]
	v_mov_b32_e32 v14, 2
	s_and_saveexec_b64 s[24:25], vcc
	s_cbranch_execz .LBB7_19
; %bb.5:
	s_cmp_lg_u32 s9, 0
	s_cbranch_scc0 .LBB7_8
; %bb.6:
	s_cmp_lg_u32 s10, 0
	s_cbranch_scc0 .LBB7_9
; %bb.7:
	v_cmp_le_i64_e32 vcc, v[8:9], v[10:11]
	s_mov_b64 s[0:1], 0
	s_mov_b32 s9, 7
	s_and_b64 s[30:31], vcc, exec
	s_branch .LBB7_10
.LBB7_8:
	s_mov_b64 s[30:31], -1
	s_mov_b64 s[26:27], 0
	s_mov_b32 s9, 2
	s_branch .LBB7_12
.LBB7_9:
	s_mov_b64 s[0:1], -1
	s_mov_b64 s[30:31], 0
	s_mov_b32 s9, 2
	s_mov_b64 s[26:27], 0
.LBB7_10:
	s_andn2_b64 vcc, exec, s[0:1]
	s_cbranch_vccnz .LBB7_12
; %bb.11:
	v_cmp_lt_i64_e32 vcc, v[8:9], v[10:11]
	v_cmp_ge_i64_e64 s[0:1], v[8:9], v[10:11]
	s_andn2_b64 s[26:27], s[26:27], exec
	s_and_b64 s[28:29], vcc, exec
	s_or_b64 s[26:27], s[26:27], s[28:29]
	s_andn2_b64 s[28:29], s[30:31], exec
	s_and_b64 s[0:1], s[0:1], exec
	s_mov_b32 s9, 7
	s_or_b64 s[30:31], s[28:29], s[0:1]
.LBB7_12:
	v_mov_b32_e32 v14, s9
	s_and_saveexec_b64 s[28:29], s[30:31]
	s_cbranch_execz .LBB7_18
; %bb.13:
	s_cmp_eq_u32 s11, 0
	s_cselect_b64 s[0:1], -1, 0
	s_add_u32 s10, s18, -1
	s_addc_u32 s11, s19, -1
	v_cmp_gt_u64_e32 vcc, s[10:11], v[4:5]
	v_mov_b32_e32 v14, s9
	s_and_b64 s[18:19], s[0:1], vcc
	s_mov_b64 s[0:1], 0
	s_and_saveexec_b64 s[10:11], s[18:19]
	s_cbranch_execz .LBB7_17
; %bb.14:
	global_load_dwordx2 v[0:1], v[6:7], off offset:8
	v_mov_b32_e32 v14, s9
	s_waitcnt vmcnt(0)
	v_cmp_eq_u64_e32 vcc, v[8:9], v[0:1]
	s_and_saveexec_b64 s[18:19], vcc
	s_cbranch_execz .LBB7_16
; %bb.15:
	global_load_dwordx2 v[0:1], v[12:13], off offset:8
	v_mov_b32_e32 v14, 6
	s_waitcnt vmcnt(0)
	v_subrev_co_u32_e32 v2, vcc, s8, v0
	v_subbrev_co_u32_e32 v3, vcc, 0, v1, vcc
	v_cmp_lt_i64_e32 vcc, -1, v[2:3]
	v_cmp_gt_i64_e64 s[0:1], s[2:3], v[2:3]
	v_cmp_gt_i64_e64 s[2:3], v[10:11], v[0:1]
	s_and_b64 s[0:1], vcc, s[0:1]
	s_and_b64 s[0:1], s[2:3], s[0:1]
	s_and_b64 s[0:1], s[0:1], exec
.LBB7_16:
	s_or_b64 exec, exec, s[18:19]
	s_and_b64 s[0:1], s[0:1], exec
.LBB7_17:
	s_or_b64 exec, exec, s[10:11]
	s_andn2_b64 s[2:3], s[26:27], exec
	s_and_b64 s[0:1], s[0:1], exec
	s_or_b64 s[26:27], s[2:3], s[0:1]
.LBB7_18:
	s_or_b64 exec, exec, s[28:29]
	s_orn2_b64 s[26:27], s[26:27], exec
.LBB7_19:
	s_or_b64 exec, exec, s[24:25]
	s_andn2_b64 s[0:1], s[20:21], exec
	s_and_b64 s[2:3], s[26:27], exec
	s_or_b64 s[20:21], s[0:1], s[2:3]
.LBB7_20:
	s_or_b64 exec, exec, s[22:23]
	s_andn2_b64 s[0:1], s[14:15], exec
	s_and_b64 s[2:3], s[20:21], exec
	s_or_b64 s[14:15], s[0:1], s[2:3]
.LBB7_21:
	s_or_b64 exec, exec, s[16:17]
	s_andn2_b64 s[0:1], s[6:7], exec
	s_and_b64 s[2:3], s[14:15], exec
	s_or_b64 s[6:7], s[0:1], s[2:3]
.LBB7_22:
	s_or_b64 exec, exec, s[12:13]
	s_and_b64 exec, exec, s[6:7]
	s_cbranch_execz .LBB7_24
; %bb.23:
	s_load_dwordx2 s[0:1], s[4:5], 0x40
	v_mov_b32_e32 v0, 0
	s_waitcnt lgkmcnt(0)
	global_store_dword v0, v14, s[0:1]
.LBB7_24:
	s_endpgm
	.section	.rodata,"a",@progbits
	.p2align	6, 0x0
	.amdhsa_kernel _ZN9rocsparseL23check_matrix_coo_deviceILj256E21rocsparse_complex_numIdEllEEvT2_S3_lPKT0_PKT1_PKS3_21rocsparse_index_base_22rocsparse_matrix_type_20rocsparse_fill_mode_23rocsparse_storage_mode_P22rocsparse_data_status_
		.amdhsa_group_segment_fixed_size 0
		.amdhsa_private_segment_fixed_size 0
		.amdhsa_kernarg_size 72
		.amdhsa_user_sgpr_count 6
		.amdhsa_user_sgpr_private_segment_buffer 1
		.amdhsa_user_sgpr_dispatch_ptr 0
		.amdhsa_user_sgpr_queue_ptr 0
		.amdhsa_user_sgpr_kernarg_segment_ptr 1
		.amdhsa_user_sgpr_dispatch_id 0
		.amdhsa_user_sgpr_flat_scratch_init 0
		.amdhsa_user_sgpr_private_segment_size 0
		.amdhsa_uses_dynamic_stack 0
		.amdhsa_system_sgpr_private_segment_wavefront_offset 0
		.amdhsa_system_sgpr_workgroup_id_x 1
		.amdhsa_system_sgpr_workgroup_id_y 0
		.amdhsa_system_sgpr_workgroup_id_z 0
		.amdhsa_system_sgpr_workgroup_info 0
		.amdhsa_system_vgpr_workitem_id 0
		.amdhsa_next_free_vgpr 15
		.amdhsa_next_free_sgpr 32
		.amdhsa_reserve_vcc 1
		.amdhsa_reserve_flat_scratch 0
		.amdhsa_float_round_mode_32 0
		.amdhsa_float_round_mode_16_64 0
		.amdhsa_float_denorm_mode_32 3
		.amdhsa_float_denorm_mode_16_64 3
		.amdhsa_dx10_clamp 1
		.amdhsa_ieee_mode 1
		.amdhsa_fp16_overflow 0
		.amdhsa_exception_fp_ieee_invalid_op 0
		.amdhsa_exception_fp_denorm_src 0
		.amdhsa_exception_fp_ieee_div_zero 0
		.amdhsa_exception_fp_ieee_overflow 0
		.amdhsa_exception_fp_ieee_underflow 0
		.amdhsa_exception_fp_ieee_inexact 0
		.amdhsa_exception_int_div_zero 0
	.end_amdhsa_kernel
	.section	.text._ZN9rocsparseL23check_matrix_coo_deviceILj256E21rocsparse_complex_numIdEllEEvT2_S3_lPKT0_PKT1_PKS3_21rocsparse_index_base_22rocsparse_matrix_type_20rocsparse_fill_mode_23rocsparse_storage_mode_P22rocsparse_data_status_,"axG",@progbits,_ZN9rocsparseL23check_matrix_coo_deviceILj256E21rocsparse_complex_numIdEllEEvT2_S3_lPKT0_PKT1_PKS3_21rocsparse_index_base_22rocsparse_matrix_type_20rocsparse_fill_mode_23rocsparse_storage_mode_P22rocsparse_data_status_,comdat
.Lfunc_end7:
	.size	_ZN9rocsparseL23check_matrix_coo_deviceILj256E21rocsparse_complex_numIdEllEEvT2_S3_lPKT0_PKT1_PKS3_21rocsparse_index_base_22rocsparse_matrix_type_20rocsparse_fill_mode_23rocsparse_storage_mode_P22rocsparse_data_status_, .Lfunc_end7-_ZN9rocsparseL23check_matrix_coo_deviceILj256E21rocsparse_complex_numIdEllEEvT2_S3_lPKT0_PKT1_PKS3_21rocsparse_index_base_22rocsparse_matrix_type_20rocsparse_fill_mode_23rocsparse_storage_mode_P22rocsparse_data_status_
                                        ; -- End function
	.set _ZN9rocsparseL23check_matrix_coo_deviceILj256E21rocsparse_complex_numIdEllEEvT2_S3_lPKT0_PKT1_PKS3_21rocsparse_index_base_22rocsparse_matrix_type_20rocsparse_fill_mode_23rocsparse_storage_mode_P22rocsparse_data_status_.num_vgpr, 15
	.set _ZN9rocsparseL23check_matrix_coo_deviceILj256E21rocsparse_complex_numIdEllEEvT2_S3_lPKT0_PKT1_PKS3_21rocsparse_index_base_22rocsparse_matrix_type_20rocsparse_fill_mode_23rocsparse_storage_mode_P22rocsparse_data_status_.num_agpr, 0
	.set _ZN9rocsparseL23check_matrix_coo_deviceILj256E21rocsparse_complex_numIdEllEEvT2_S3_lPKT0_PKT1_PKS3_21rocsparse_index_base_22rocsparse_matrix_type_20rocsparse_fill_mode_23rocsparse_storage_mode_P22rocsparse_data_status_.numbered_sgpr, 32
	.set _ZN9rocsparseL23check_matrix_coo_deviceILj256E21rocsparse_complex_numIdEllEEvT2_S3_lPKT0_PKT1_PKS3_21rocsparse_index_base_22rocsparse_matrix_type_20rocsparse_fill_mode_23rocsparse_storage_mode_P22rocsparse_data_status_.num_named_barrier, 0
	.set _ZN9rocsparseL23check_matrix_coo_deviceILj256E21rocsparse_complex_numIdEllEEvT2_S3_lPKT0_PKT1_PKS3_21rocsparse_index_base_22rocsparse_matrix_type_20rocsparse_fill_mode_23rocsparse_storage_mode_P22rocsparse_data_status_.private_seg_size, 0
	.set _ZN9rocsparseL23check_matrix_coo_deviceILj256E21rocsparse_complex_numIdEllEEvT2_S3_lPKT0_PKT1_PKS3_21rocsparse_index_base_22rocsparse_matrix_type_20rocsparse_fill_mode_23rocsparse_storage_mode_P22rocsparse_data_status_.uses_vcc, 1
	.set _ZN9rocsparseL23check_matrix_coo_deviceILj256E21rocsparse_complex_numIdEllEEvT2_S3_lPKT0_PKT1_PKS3_21rocsparse_index_base_22rocsparse_matrix_type_20rocsparse_fill_mode_23rocsparse_storage_mode_P22rocsparse_data_status_.uses_flat_scratch, 0
	.set _ZN9rocsparseL23check_matrix_coo_deviceILj256E21rocsparse_complex_numIdEllEEvT2_S3_lPKT0_PKT1_PKS3_21rocsparse_index_base_22rocsparse_matrix_type_20rocsparse_fill_mode_23rocsparse_storage_mode_P22rocsparse_data_status_.has_dyn_sized_stack, 0
	.set _ZN9rocsparseL23check_matrix_coo_deviceILj256E21rocsparse_complex_numIdEllEEvT2_S3_lPKT0_PKT1_PKS3_21rocsparse_index_base_22rocsparse_matrix_type_20rocsparse_fill_mode_23rocsparse_storage_mode_P22rocsparse_data_status_.has_recursion, 0
	.set _ZN9rocsparseL23check_matrix_coo_deviceILj256E21rocsparse_complex_numIdEllEEvT2_S3_lPKT0_PKT1_PKS3_21rocsparse_index_base_22rocsparse_matrix_type_20rocsparse_fill_mode_23rocsparse_storage_mode_P22rocsparse_data_status_.has_indirect_call, 0
	.section	.AMDGPU.csdata,"",@progbits
; Kernel info:
; codeLenInByte = 692
; TotalNumSgprs: 36
; NumVgprs: 15
; ScratchSize: 0
; MemoryBound: 0
; FloatMode: 240
; IeeeMode: 1
; LDSByteSize: 0 bytes/workgroup (compile time only)
; SGPRBlocks: 4
; VGPRBlocks: 3
; NumSGPRsForWavesPerEU: 36
; NumVGPRsForWavesPerEU: 15
; Occupancy: 10
; WaveLimiterHint : 0
; COMPUTE_PGM_RSRC2:SCRATCH_EN: 0
; COMPUTE_PGM_RSRC2:USER_SGPR: 6
; COMPUTE_PGM_RSRC2:TRAP_HANDLER: 0
; COMPUTE_PGM_RSRC2:TGID_X_EN: 1
; COMPUTE_PGM_RSRC2:TGID_Y_EN: 0
; COMPUTE_PGM_RSRC2:TGID_Z_EN: 0
; COMPUTE_PGM_RSRC2:TIDIG_COMP_CNT: 0
	.section	.AMDGPU.gpr_maximums,"",@progbits
	.set amdgpu.max_num_vgpr, 0
	.set amdgpu.max_num_agpr, 0
	.set amdgpu.max_num_sgpr, 0
	.section	.AMDGPU.csdata,"",@progbits
	.type	__hip_cuid_11fca6aff7bb5022,@object ; @__hip_cuid_11fca6aff7bb5022
	.section	.bss,"aw",@nobits
	.globl	__hip_cuid_11fca6aff7bb5022
__hip_cuid_11fca6aff7bb5022:
	.byte	0                               ; 0x0
	.size	__hip_cuid_11fca6aff7bb5022, 1

	.ident	"AMD clang version 22.0.0git (https://github.com/RadeonOpenCompute/llvm-project roc-7.2.4 26084 f58b06dce1f9c15707c5f808fd002e18c2accf7e)"
	.section	".note.GNU-stack","",@progbits
	.addrsig
	.addrsig_sym __hip_cuid_11fca6aff7bb5022
	.amdgpu_metadata
---
amdhsa.kernels:
  - .args:
      - .offset:         0
        .size:           4
        .value_kind:     by_value
      - .offset:         4
        .size:           4
        .value_kind:     by_value
      - .offset:         8
        .size:           8
        .value_kind:     by_value
      - .actual_access:  read_only
        .address_space:  global
        .offset:         16
        .size:           8
        .value_kind:     global_buffer
      - .actual_access:  read_only
        .address_space:  global
        .offset:         24
        .size:           8
        .value_kind:     global_buffer
      - .actual_access:  read_only
        .address_space:  global
        .offset:         32
        .size:           8
        .value_kind:     global_buffer
      - .offset:         40
        .size:           4
        .value_kind:     by_value
      - .offset:         44
        .size:           4
        .value_kind:     by_value
      - .offset:         48
        .size:           4
        .value_kind:     by_value
      - .offset:         52
        .size:           4
        .value_kind:     by_value
      - .address_space:  global
        .offset:         56
        .size:           8
        .value_kind:     global_buffer
    .group_segment_fixed_size: 0
    .kernarg_segment_align: 8
    .kernarg_segment_size: 64
    .language:       OpenCL C
    .language_version:
      - 2
      - 0
    .max_flat_workgroup_size: 256
    .name:           _ZN9rocsparseL23check_matrix_coo_deviceILj256EfiiEEvT2_S1_lPKT0_PKT1_PKS1_21rocsparse_index_base_22rocsparse_matrix_type_20rocsparse_fill_mode_23rocsparse_storage_mode_P22rocsparse_data_status_
    .private_segment_fixed_size: 0
    .sgpr_count:     36
    .sgpr_spill_count: 0
    .symbol:         _ZN9rocsparseL23check_matrix_coo_deviceILj256EfiiEEvT2_S1_lPKT0_PKT1_PKS1_21rocsparse_index_base_22rocsparse_matrix_type_20rocsparse_fill_mode_23rocsparse_storage_mode_P22rocsparse_data_status_.kd
    .uniform_work_group_size: 1
    .uses_dynamic_stack: false
    .vgpr_count:     11
    .vgpr_spill_count: 0
    .wavefront_size: 64
  - .args:
      - .offset:         0
        .size:           4
        .value_kind:     by_value
      - .offset:         4
        .size:           4
        .value_kind:     by_value
      - .offset:         8
        .size:           8
        .value_kind:     by_value
      - .actual_access:  read_only
        .address_space:  global
        .offset:         16
        .size:           8
        .value_kind:     global_buffer
      - .actual_access:  read_only
        .address_space:  global
        .offset:         24
        .size:           8
        .value_kind:     global_buffer
      - .actual_access:  read_only
        .address_space:  global
        .offset:         32
        .size:           8
        .value_kind:     global_buffer
      - .offset:         40
        .size:           4
        .value_kind:     by_value
      - .offset:         44
        .size:           4
        .value_kind:     by_value
      - .offset:         48
        .size:           4
        .value_kind:     by_value
      - .offset:         52
        .size:           4
        .value_kind:     by_value
      - .address_space:  global
        .offset:         56
        .size:           8
        .value_kind:     global_buffer
    .group_segment_fixed_size: 0
    .kernarg_segment_align: 8
    .kernarg_segment_size: 64
    .language:       OpenCL C
    .language_version:
      - 2
      - 0
    .max_flat_workgroup_size: 256
    .name:           _ZN9rocsparseL23check_matrix_coo_deviceILj256EdiiEEvT2_S1_lPKT0_PKT1_PKS1_21rocsparse_index_base_22rocsparse_matrix_type_20rocsparse_fill_mode_23rocsparse_storage_mode_P22rocsparse_data_status_
    .private_segment_fixed_size: 0
    .sgpr_count:     36
    .sgpr_spill_count: 0
    .symbol:         _ZN9rocsparseL23check_matrix_coo_deviceILj256EdiiEEvT2_S1_lPKT0_PKT1_PKS1_21rocsparse_index_base_22rocsparse_matrix_type_20rocsparse_fill_mode_23rocsparse_storage_mode_P22rocsparse_data_status_.kd
    .uniform_work_group_size: 1
    .uses_dynamic_stack: false
    .vgpr_count:     11
    .vgpr_spill_count: 0
    .wavefront_size: 64
  - .args:
      - .offset:         0
        .size:           4
        .value_kind:     by_value
      - .offset:         4
        .size:           4
        .value_kind:     by_value
      - .offset:         8
        .size:           8
        .value_kind:     by_value
      - .actual_access:  read_only
        .address_space:  global
        .offset:         16
        .size:           8
        .value_kind:     global_buffer
      - .actual_access:  read_only
        .address_space:  global
        .offset:         24
        .size:           8
        .value_kind:     global_buffer
      - .actual_access:  read_only
        .address_space:  global
        .offset:         32
        .size:           8
        .value_kind:     global_buffer
      - .offset:         40
        .size:           4
        .value_kind:     by_value
      - .offset:         44
        .size:           4
        .value_kind:     by_value
      - .offset:         48
        .size:           4
        .value_kind:     by_value
      - .offset:         52
        .size:           4
        .value_kind:     by_value
      - .address_space:  global
        .offset:         56
        .size:           8
        .value_kind:     global_buffer
    .group_segment_fixed_size: 0
    .kernarg_segment_align: 8
    .kernarg_segment_size: 64
    .language:       OpenCL C
    .language_version:
      - 2
      - 0
    .max_flat_workgroup_size: 256
    .name:           _ZN9rocsparseL23check_matrix_coo_deviceILj256E21rocsparse_complex_numIfEiiEEvT2_S3_lPKT0_PKT1_PKS3_21rocsparse_index_base_22rocsparse_matrix_type_20rocsparse_fill_mode_23rocsparse_storage_mode_P22rocsparse_data_status_
    .private_segment_fixed_size: 0
    .sgpr_count:     36
    .sgpr_spill_count: 0
    .symbol:         _ZN9rocsparseL23check_matrix_coo_deviceILj256E21rocsparse_complex_numIfEiiEEvT2_S3_lPKT0_PKT1_PKS3_21rocsparse_index_base_22rocsparse_matrix_type_20rocsparse_fill_mode_23rocsparse_storage_mode_P22rocsparse_data_status_.kd
    .uniform_work_group_size: 1
    .uses_dynamic_stack: false
    .vgpr_count:     11
    .vgpr_spill_count: 0
    .wavefront_size: 64
  - .args:
      - .offset:         0
        .size:           4
        .value_kind:     by_value
      - .offset:         4
        .size:           4
        .value_kind:     by_value
      - .offset:         8
        .size:           8
        .value_kind:     by_value
      - .actual_access:  read_only
        .address_space:  global
        .offset:         16
        .size:           8
        .value_kind:     global_buffer
      - .actual_access:  read_only
        .address_space:  global
        .offset:         24
        .size:           8
        .value_kind:     global_buffer
      - .actual_access:  read_only
        .address_space:  global
        .offset:         32
        .size:           8
        .value_kind:     global_buffer
      - .offset:         40
        .size:           4
        .value_kind:     by_value
      - .offset:         44
        .size:           4
        .value_kind:     by_value
      - .offset:         48
        .size:           4
        .value_kind:     by_value
      - .offset:         52
        .size:           4
        .value_kind:     by_value
      - .address_space:  global
        .offset:         56
        .size:           8
        .value_kind:     global_buffer
    .group_segment_fixed_size: 0
    .kernarg_segment_align: 8
    .kernarg_segment_size: 64
    .language:       OpenCL C
    .language_version:
      - 2
      - 0
    .max_flat_workgroup_size: 256
    .name:           _ZN9rocsparseL23check_matrix_coo_deviceILj256E21rocsparse_complex_numIdEiiEEvT2_S3_lPKT0_PKT1_PKS3_21rocsparse_index_base_22rocsparse_matrix_type_20rocsparse_fill_mode_23rocsparse_storage_mode_P22rocsparse_data_status_
    .private_segment_fixed_size: 0
    .sgpr_count:     36
    .sgpr_spill_count: 0
    .symbol:         _ZN9rocsparseL23check_matrix_coo_deviceILj256E21rocsparse_complex_numIdEiiEEvT2_S3_lPKT0_PKT1_PKS3_21rocsparse_index_base_22rocsparse_matrix_type_20rocsparse_fill_mode_23rocsparse_storage_mode_P22rocsparse_data_status_.kd
    .uniform_work_group_size: 1
    .uses_dynamic_stack: false
    .vgpr_count:     13
    .vgpr_spill_count: 0
    .wavefront_size: 64
  - .args:
      - .offset:         0
        .size:           8
        .value_kind:     by_value
      - .offset:         8
        .size:           8
        .value_kind:     by_value
      - .offset:         16
        .size:           8
        .value_kind:     by_value
      - .actual_access:  read_only
        .address_space:  global
        .offset:         24
        .size:           8
        .value_kind:     global_buffer
      - .actual_access:  read_only
        .address_space:  global
        .offset:         32
        .size:           8
        .value_kind:     global_buffer
      - .actual_access:  read_only
        .address_space:  global
        .offset:         40
        .size:           8
        .value_kind:     global_buffer
      - .offset:         48
        .size:           4
        .value_kind:     by_value
      - .offset:         52
        .size:           4
        .value_kind:     by_value
      - .offset:         56
        .size:           4
        .value_kind:     by_value
      - .offset:         60
        .size:           4
        .value_kind:     by_value
      - .address_space:  global
        .offset:         64
        .size:           8
        .value_kind:     global_buffer
    .group_segment_fixed_size: 0
    .kernarg_segment_align: 8
    .kernarg_segment_size: 72
    .language:       OpenCL C
    .language_version:
      - 2
      - 0
    .max_flat_workgroup_size: 256
    .name:           _ZN9rocsparseL23check_matrix_coo_deviceILj256EfllEEvT2_S1_lPKT0_PKT1_PKS1_21rocsparse_index_base_22rocsparse_matrix_type_20rocsparse_fill_mode_23rocsparse_storage_mode_P22rocsparse_data_status_
    .private_segment_fixed_size: 0
    .sgpr_count:     36
    .sgpr_spill_count: 0
    .symbol:         _ZN9rocsparseL23check_matrix_coo_deviceILj256EfllEEvT2_S1_lPKT0_PKT1_PKS1_21rocsparse_index_base_22rocsparse_matrix_type_20rocsparse_fill_mode_23rocsparse_storage_mode_P22rocsparse_data_status_.kd
    .uniform_work_group_size: 1
    .uses_dynamic_stack: false
    .vgpr_count:     13
    .vgpr_spill_count: 0
    .wavefront_size: 64
  - .args:
      - .offset:         0
        .size:           8
        .value_kind:     by_value
      - .offset:         8
        .size:           8
        .value_kind:     by_value
      - .offset:         16
        .size:           8
        .value_kind:     by_value
      - .actual_access:  read_only
        .address_space:  global
        .offset:         24
        .size:           8
        .value_kind:     global_buffer
      - .actual_access:  read_only
        .address_space:  global
        .offset:         32
        .size:           8
        .value_kind:     global_buffer
      - .actual_access:  read_only
        .address_space:  global
        .offset:         40
        .size:           8
        .value_kind:     global_buffer
      - .offset:         48
        .size:           4
        .value_kind:     by_value
      - .offset:         52
        .size:           4
        .value_kind:     by_value
      - .offset:         56
        .size:           4
        .value_kind:     by_value
      - .offset:         60
        .size:           4
        .value_kind:     by_value
      - .address_space:  global
        .offset:         64
        .size:           8
        .value_kind:     global_buffer
    .group_segment_fixed_size: 0
    .kernarg_segment_align: 8
    .kernarg_segment_size: 72
    .language:       OpenCL C
    .language_version:
      - 2
      - 0
    .max_flat_workgroup_size: 256
    .name:           _ZN9rocsparseL23check_matrix_coo_deviceILj256EdllEEvT2_S1_lPKT0_PKT1_PKS1_21rocsparse_index_base_22rocsparse_matrix_type_20rocsparse_fill_mode_23rocsparse_storage_mode_P22rocsparse_data_status_
    .private_segment_fixed_size: 0
    .sgpr_count:     36
    .sgpr_spill_count: 0
    .symbol:         _ZN9rocsparseL23check_matrix_coo_deviceILj256EdllEEvT2_S1_lPKT0_PKT1_PKS1_21rocsparse_index_base_22rocsparse_matrix_type_20rocsparse_fill_mode_23rocsparse_storage_mode_P22rocsparse_data_status_.kd
    .uniform_work_group_size: 1
    .uses_dynamic_stack: false
    .vgpr_count:     14
    .vgpr_spill_count: 0
    .wavefront_size: 64
  - .args:
      - .offset:         0
        .size:           8
        .value_kind:     by_value
      - .offset:         8
        .size:           8
        .value_kind:     by_value
      - .offset:         16
        .size:           8
        .value_kind:     by_value
      - .actual_access:  read_only
        .address_space:  global
        .offset:         24
        .size:           8
        .value_kind:     global_buffer
      - .actual_access:  read_only
        .address_space:  global
        .offset:         32
        .size:           8
        .value_kind:     global_buffer
      - .actual_access:  read_only
        .address_space:  global
        .offset:         40
        .size:           8
        .value_kind:     global_buffer
      - .offset:         48
        .size:           4
        .value_kind:     by_value
      - .offset:         52
        .size:           4
        .value_kind:     by_value
      - .offset:         56
        .size:           4
        .value_kind:     by_value
      - .offset:         60
        .size:           4
        .value_kind:     by_value
      - .address_space:  global
        .offset:         64
        .size:           8
        .value_kind:     global_buffer
    .group_segment_fixed_size: 0
    .kernarg_segment_align: 8
    .kernarg_segment_size: 72
    .language:       OpenCL C
    .language_version:
      - 2
      - 0
    .max_flat_workgroup_size: 256
    .name:           _ZN9rocsparseL23check_matrix_coo_deviceILj256E21rocsparse_complex_numIfEllEEvT2_S3_lPKT0_PKT1_PKS3_21rocsparse_index_base_22rocsparse_matrix_type_20rocsparse_fill_mode_23rocsparse_storage_mode_P22rocsparse_data_status_
    .private_segment_fixed_size: 0
    .sgpr_count:     36
    .sgpr_spill_count: 0
    .symbol:         _ZN9rocsparseL23check_matrix_coo_deviceILj256E21rocsparse_complex_numIfEllEEvT2_S3_lPKT0_PKT1_PKS3_21rocsparse_index_base_22rocsparse_matrix_type_20rocsparse_fill_mode_23rocsparse_storage_mode_P22rocsparse_data_status_.kd
    .uniform_work_group_size: 1
    .uses_dynamic_stack: false
    .vgpr_count:     14
    .vgpr_spill_count: 0
    .wavefront_size: 64
  - .args:
      - .offset:         0
        .size:           8
        .value_kind:     by_value
      - .offset:         8
        .size:           8
        .value_kind:     by_value
      - .offset:         16
        .size:           8
        .value_kind:     by_value
      - .actual_access:  read_only
        .address_space:  global
        .offset:         24
        .size:           8
        .value_kind:     global_buffer
      - .actual_access:  read_only
        .address_space:  global
        .offset:         32
        .size:           8
        .value_kind:     global_buffer
      - .actual_access:  read_only
        .address_space:  global
        .offset:         40
        .size:           8
        .value_kind:     global_buffer
      - .offset:         48
        .size:           4
        .value_kind:     by_value
      - .offset:         52
        .size:           4
        .value_kind:     by_value
      - .offset:         56
        .size:           4
        .value_kind:     by_value
      - .offset:         60
        .size:           4
        .value_kind:     by_value
      - .address_space:  global
        .offset:         64
        .size:           8
        .value_kind:     global_buffer
    .group_segment_fixed_size: 0
    .kernarg_segment_align: 8
    .kernarg_segment_size: 72
    .language:       OpenCL C
    .language_version:
      - 2
      - 0
    .max_flat_workgroup_size: 256
    .name:           _ZN9rocsparseL23check_matrix_coo_deviceILj256E21rocsparse_complex_numIdEllEEvT2_S3_lPKT0_PKT1_PKS3_21rocsparse_index_base_22rocsparse_matrix_type_20rocsparse_fill_mode_23rocsparse_storage_mode_P22rocsparse_data_status_
    .private_segment_fixed_size: 0
    .sgpr_count:     36
    .sgpr_spill_count: 0
    .symbol:         _ZN9rocsparseL23check_matrix_coo_deviceILj256E21rocsparse_complex_numIdEllEEvT2_S3_lPKT0_PKT1_PKS3_21rocsparse_index_base_22rocsparse_matrix_type_20rocsparse_fill_mode_23rocsparse_storage_mode_P22rocsparse_data_status_.kd
    .uniform_work_group_size: 1
    .uses_dynamic_stack: false
    .vgpr_count:     15
    .vgpr_spill_count: 0
    .wavefront_size: 64
amdhsa.target:   amdgcn-amd-amdhsa--gfx906
amdhsa.version:
  - 1
  - 2
...

	.end_amdgpu_metadata
